;; amdgpu-corpus repo=ROCm/rocFFT kind=compiled arch=gfx1030 opt=O3
	.text
	.amdgcn_target "amdgcn-amd-amdhsa--gfx1030"
	.amdhsa_code_object_version 6
	.protected	bluestein_single_back_len130_dim1_dp_op_CI_CI ; -- Begin function bluestein_single_back_len130_dim1_dp_op_CI_CI
	.globl	bluestein_single_back_len130_dim1_dp_op_CI_CI
	.p2align	8
	.type	bluestein_single_back_len130_dim1_dp_op_CI_CI,@function
bluestein_single_back_len130_dim1_dp_op_CI_CI: ; @bluestein_single_back_len130_dim1_dp_op_CI_CI
; %bb.0:
	s_load_dwordx4 s[0:3], s[4:5], 0x28
	v_mul_u32_u24_e32 v1, 0x13b2, v0
	v_mov_b32_e32 v89, 0
	v_lshrrev_b32_e32 v1, 16, v1
	v_lshl_add_u32 v88, s6, 2, v1
	s_waitcnt lgkmcnt(0)
	v_cmp_gt_u64_e32 vcc_lo, s[0:1], v[88:89]
	s_and_saveexec_b32 s0, vcc_lo
	s_cbranch_execz .LBB0_15
; %bb.1:
	v_mul_lo_u16 v2, v1, 13
	s_clause 0x1
	s_load_dwordx2 s[14:15], s[4:5], 0x0
	s_load_dwordx2 s[12:13], s[4:5], 0x38
	v_and_b32_e32 v1, 3, v1
	v_sub_nc_u16 v0, v0, v2
	v_mul_u32_u24_e32 v190, 0x82, v1
	v_and_b32_e32 v186, 0xffff, v0
	v_cmp_gt_u16_e32 vcc_lo, 10, v0
	v_lshlrev_b32_e32 v188, 4, v190
	v_lshlrev_b32_e32 v187, 4, v186
	v_or_b32_e32 v185, 0x50, v186
	s_and_saveexec_b32 s1, vcc_lo
	s_cbranch_execz .LBB0_3
; %bb.2:
	s_load_dwordx2 s[6:7], s[4:5], 0x18
	s_waitcnt lgkmcnt(0)
	s_load_dwordx4 s[8:11], s[6:7], 0x0
	s_waitcnt lgkmcnt(0)
	v_mad_u64_u32 v[0:1], null, s10, v88, 0
	v_mad_u64_u32 v[2:3], null, s8, v186, 0
	s_mul_i32 s7, s9, 0xa0
	s_mul_hi_u32 s10, s8, 0xa0
	s_mul_i32 s6, s8, 0xa0
	s_add_i32 s10, s10, s7
	v_mad_u64_u32 v[4:5], null, s11, v88, v[1:2]
	v_mad_u64_u32 v[5:6], null, s9, v186, v[3:4]
	v_mov_b32_e32 v1, v4
	v_lshlrev_b64 v[0:1], 4, v[0:1]
	v_mov_b32_e32 v3, v5
	v_add_co_u32 v4, s0, s2, v0
	v_lshlrev_b64 v[2:3], 4, v[2:3]
	v_add_co_ci_u32_e64 v5, s0, s3, v1, s0
	v_mad_u64_u32 v[0:1], null, s8, v185, 0
	v_add_co_u32 v12, s0, v4, v2
	v_add_co_ci_u32_e64 v13, s0, v5, v3, s0
	v_add_co_u32 v48, s0, v12, s6
	v_add_co_ci_u32_e64 v49, s0, s10, v13, s0
	v_mad_u64_u32 v[1:2], null, s9, v185, v[1:2]
	v_add_co_u32 v52, s0, v48, s6
	v_add_co_ci_u32_e64 v53, s0, s10, v49, s0
	v_add_co_u32 v56, s0, v52, s6
	v_add_co_ci_u32_e64 v57, s0, s10, v53, s0
	v_lshlrev_b64 v[0:1], 4, v[0:1]
	v_add_co_u32 v60, s0, v56, s6
	v_add_co_ci_u32_e64 v61, s0, s10, v57, s0
	v_add_co_u32 v64, s0, v60, s6
	v_add_co_ci_u32_e64 v65, s0, s10, v61, s0
	;; [unrolled: 2-line block ×5, first 2 shown]
	v_mad_u64_u32 v[76:77], null, 0x140, s8, v[72:73]
	s_clause 0x2
	global_load_dwordx4 v[0:3], v187, s[14:15] offset:1280
	global_load_dwordx4 v[4:7], v187, s[14:15]
	global_load_dwordx4 v[8:11], v187, s[14:15] offset:160
	s_clause 0x1
	global_load_dwordx4 v[12:15], v[12:13], off
	global_load_dwordx4 v[16:19], v[16:17], off
	s_clause 0x5
	global_load_dwordx4 v[20:23], v187, s[14:15] offset:320
	global_load_dwordx4 v[24:27], v187, s[14:15] offset:480
	;; [unrolled: 1-line block ×6, first 2 shown]
	v_mov_b32_e32 v44, v77
	v_add_co_u32 v80, s0, v76, s6
	v_mad_u64_u32 v[74:75], null, 0x140, s9, v[44:45]
	global_load_dwordx4 v[44:47], v187, s[14:15] offset:1440
	s_clause 0x3
	global_load_dwordx4 v[48:51], v[48:49], off
	global_load_dwordx4 v[52:55], v[52:53], off
	;; [unrolled: 1-line block ×6, first 2 shown]
	v_mov_b32_e32 v77, v74
	global_load_dwordx4 v[72:75], v[72:73], off
	v_add_co_ci_u32_e64 v81, s0, s10, v77, s0
	v_add_co_u32 v93, s0, v80, s6
	global_load_dwordx4 v[76:79], v[76:77], off
	v_add_co_ci_u32_e64 v94, s0, s10, v81, s0
	v_add_co_u32 v101, s0, v93, s6
	global_load_dwordx4 v[80:83], v[80:81], off
	v_add_co_ci_u32_e64 v102, s0, s10, v94, s0
	s_clause 0x1
	global_load_dwordx4 v[84:87], v187, s[14:15] offset:1600
	global_load_dwordx4 v[89:92], v187, s[14:15] offset:1760
	global_load_dwordx4 v[93:96], v[93:94], off
	global_load_dwordx4 v[97:100], v187, s[14:15] offset:1920
	global_load_dwordx4 v[101:104], v[101:102], off
	s_waitcnt vmcnt(22)
	v_mul_f64 v[105:106], v[14:15], v[6:7]
	s_waitcnt vmcnt(21)
	v_mul_f64 v[107:108], v[18:19], v[2:3]
	v_mul_f64 v[109:110], v[16:17], v[2:3]
	;; [unrolled: 1-line block ×3, first 2 shown]
	s_waitcnt vmcnt(13)
	v_mul_f64 v[111:112], v[50:51], v[10:11]
	v_mul_f64 v[113:114], v[48:49], v[10:11]
	s_waitcnt vmcnt(12)
	v_mul_f64 v[115:116], v[54:55], v[22:23]
	v_mul_f64 v[22:23], v[52:53], v[22:23]
	;; [unrolled: 3-line block ×4, first 2 shown]
	v_fma_f64 v[2:3], v[12:13], v[4:5], v[105:106]
	v_fma_f64 v[10:11], v[16:17], v[0:1], v[107:108]
	v_fma_f64 v[12:13], v[18:19], v[0:1], -v[109:110]
	s_waitcnt vmcnt(9)
	v_mul_f64 v[0:1], v[66:67], v[34:35]
	v_mul_f64 v[34:35], v[64:65], v[34:35]
	s_waitcnt vmcnt(8)
	v_mul_f64 v[105:106], v[70:71], v[38:39]
	v_mul_f64 v[38:39], v[68:69], v[38:39]
	;; [unrolled: 3-line block ×4, first 2 shown]
	v_fma_f64 v[4:5], v[14:15], v[4:5], -v[6:7]
	v_fma_f64 v[6:7], v[48:49], v[8:9], v[111:112]
	v_fma_f64 v[8:9], v[50:51], v[8:9], -v[113:114]
	s_waitcnt vmcnt(4)
	v_mul_f64 v[121:122], v[82:83], v[86:87]
	v_mul_f64 v[86:87], v[80:81], v[86:87]
	s_waitcnt vmcnt(2)
	v_mul_f64 v[123:124], v[95:96], v[91:92]
	v_mul_f64 v[91:92], v[93:94], v[91:92]
	;; [unrolled: 3-line block ×3, first 2 shown]
	v_fma_f64 v[14:15], v[52:53], v[20:21], v[115:116]
	v_fma_f64 v[16:17], v[54:55], v[20:21], -v[22:23]
	v_fma_f64 v[18:19], v[56:57], v[24:25], v[117:118]
	v_fma_f64 v[20:21], v[58:59], v[24:25], -v[26:27]
	;; [unrolled: 2-line block ×7, first 2 shown]
	v_lshl_add_u32 v0, v186, 4, v188
	v_add_nc_u32_e32 v1, v188, v187
	v_fma_f64 v[42:43], v[80:81], v[84:85], v[121:122]
	v_fma_f64 v[44:45], v[82:83], v[84:85], -v[86:87]
	v_fma_f64 v[46:47], v[93:94], v[89:90], v[123:124]
	v_fma_f64 v[48:49], v[95:96], v[89:90], -v[91:92]
	;; [unrolled: 2-line block ×3, first 2 shown]
	ds_write_b128 v0, v[2:5]
	ds_write_b128 v1, v[6:9] offset:160
	ds_write_b128 v1, v[14:17] offset:320
	;; [unrolled: 1-line block ×12, first 2 shown]
.LBB0_3:
	s_or_b32 exec_lo, exec_lo, s1
	s_load_dwordx2 s[0:1], s[4:5], 0x20
	s_waitcnt lgkmcnt(0)
	s_barrier
	buffer_gl0_inv
                                        ; implicit-def: $vgpr12_vgpr13
                                        ; implicit-def: $vgpr60_vgpr61
                                        ; implicit-def: $vgpr56_vgpr57
                                        ; implicit-def: $vgpr52_vgpr53
                                        ; implicit-def: $vgpr48_vgpr49
                                        ; implicit-def: $vgpr44_vgpr45
                                        ; implicit-def: $vgpr40_vgpr41
                                        ; implicit-def: $vgpr36_vgpr37
                                        ; implicit-def: $vgpr32_vgpr33
                                        ; implicit-def: $vgpr28_vgpr29
                                        ; implicit-def: $vgpr24_vgpr25
                                        ; implicit-def: $vgpr20_vgpr21
                                        ; implicit-def: $vgpr16_vgpr17
	s_and_saveexec_b32 s2, vcc_lo
	s_cbranch_execz .LBB0_5
; %bb.4:
	v_lshl_add_u32 v0, v190, 4, v187
	ds_read_b128 v[12:15], v0
	ds_read_b128 v[60:63], v0 offset:160
	ds_read_b128 v[56:59], v0 offset:320
	;; [unrolled: 1-line block ×12, first 2 shown]
.LBB0_5:
	s_or_b32 exec_lo, exec_lo, s2
	s_waitcnt lgkmcnt(0)
	v_add_f64 v[84:85], v[62:63], -v[18:19]
	v_add_f64 v[91:92], v[60:61], -v[16:17]
	s_mov_b32 s2, 0x4267c47c
	s_mov_b32 s6, 0x42a4c3d2
	;; [unrolled: 1-line block ×6, first 2 shown]
	v_add_f64 v[80:81], v[60:61], v[16:17]
	v_add_f64 v[89:90], v[62:63], v[18:19]
	v_add_f64 v[68:69], v[58:59], -v[22:23]
	v_add_f64 v[64:65], v[56:57], -v[20:21]
	s_mov_b32 s8, 0xe00740e9
	s_mov_b32 s10, 0x1ea71119
	s_mov_b32 s18, 0xebaa3ed8
	s_mov_b32 s20, 0x2ef20147
	s_mov_b32 s22, 0x4bc48dbf
	s_mov_b32 s9, 0x3fec55a7
	s_mov_b32 s11, 0x3fe22d96
	s_mov_b32 s19, 0x3fbedb7d
	s_mov_b32 s21, 0xbfedeba7
	s_mov_b32 s23, 0xbfcea1e5
	v_mul_f64 v[103:104], v[84:85], s[2:3]
	v_mul_f64 v[109:110], v[91:92], s[2:3]
	;; [unrolled: 1-line block ×6, first 2 shown]
	v_add_f64 v[66:67], v[56:57], v[20:21]
	v_add_f64 v[74:75], v[58:59], v[22:23]
	v_add_f64 v[76:77], v[54:55], -v[26:27]
	v_add_f64 v[70:71], v[52:53], -v[24:25]
	v_mul_f64 v[135:136], v[68:69], s[6:7]
	v_mul_f64 v[139:140], v[64:65], s[6:7]
	;; [unrolled: 1-line block ×6, first 2 shown]
	s_mov_b32 s24, 0xb2365da1
	s_mov_b32 s28, 0x93053d00
	s_mov_b32 s25, 0xbfd6b1d8
	s_mov_b32 s31, 0x3fedeba7
	s_mov_b32 s30, s20
	s_mov_b32 s29, 0xbfef11f4
	v_fma_f64 v[0:1], v[80:81], s[8:9], v[103:104]
	v_fma_f64 v[2:3], v[89:90], s[8:9], -v[109:110]
	v_fma_f64 v[4:5], v[80:81], s[10:11], v[153:154]
	v_fma_f64 v[6:7], v[89:90], s[10:11], -v[163:164]
	;; [unrolled: 2-line block ×3, first 2 shown]
	v_add_f64 v[72:73], v[52:53], v[24:25]
	v_add_f64 v[78:79], v[54:55], v[26:27]
	v_add_f64 v[82:83], v[48:49], -v[28:29]
	v_add_f64 v[95:96], v[50:51], -v[30:31]
	v_mul_f64 v[143:144], v[76:77], s[16:17]
	v_mul_f64 v[145:146], v[70:71], s[16:17]
	v_mul_f64 v[129:130], v[76:77], s[22:23]
	v_mul_f64 v[131:132], v[70:71], s[22:23]
	v_fma_f64 v[105:106], v[66:67], s[10:11], v[135:136]
	v_fma_f64 v[111:112], v[74:75], s[10:11], -v[139:140]
	v_fma_f64 v[113:114], v[66:67], s[24:25], v[121:122]
	v_fma_f64 v[117:118], v[74:75], s[24:25], -v[125:126]
	v_mul_f64 v[123:124], v[76:77], s[30:31]
	v_fma_f64 v[133:134], v[66:67], s[28:29], v[115:116]
	v_mul_f64 v[127:128], v[70:71], s[30:31]
	v_fma_f64 v[147:148], v[74:75], s[28:29], -v[119:120]
	v_add_f64 v[0:1], v[12:13], v[0:1]
	v_add_f64 v[2:3], v[14:15], v[2:3]
	v_add_f64 v[4:5], v[12:13], v[4:5]
	v_add_f64 v[6:7], v[14:15], v[6:7]
	v_add_f64 v[8:9], v[12:13], v[8:9]
	v_add_f64 v[10:11], v[14:15], v[10:11]
	s_mov_b32 s38, 0x24c2f84
	s_mov_b32 s39, 0x3fe5384d
	;; [unrolled: 1-line block ×4, first 2 shown]
	v_add_f64 v[86:87], v[48:49], v[28:29]
	v_add_f64 v[101:102], v[50:51], v[30:31]
	v_add_f64 v[93:94], v[44:45], -v[32:33]
	v_add_f64 v[99:100], v[46:47], -v[34:35]
	v_mul_f64 v[157:158], v[95:96], s[20:21]
	v_mul_f64 v[159:160], v[82:83], s[20:21]
	;; [unrolled: 1-line block ×3, first 2 shown]
	v_fma_f64 v[151:152], v[72:73], s[18:19], v[143:144]
	v_fma_f64 v[155:156], v[78:79], s[18:19], -v[145:146]
	v_fma_f64 v[161:162], v[72:73], s[28:29], v[129:130]
	v_mul_f64 v[149:150], v[82:83], s[38:39]
	v_mul_f64 v[137:138], v[82:83], s[40:41]
	v_add_f64 v[0:1], v[105:106], v[0:1]
	v_add_f64 v[2:3], v[111:112], v[2:3]
	v_fma_f64 v[111:112], v[78:79], s[28:29], -v[131:132]
	v_add_f64 v[4:5], v[113:114], v[4:5]
	v_add_f64 v[6:7], v[117:118], v[6:7]
	v_fma_f64 v[117:118], v[72:73], s[24:25], v[123:124]
	v_add_f64 v[8:9], v[133:134], v[8:9]
	v_mul_f64 v[133:134], v[95:96], s[40:41]
	v_fma_f64 v[169:170], v[78:79], s[24:25], -v[127:128]
	v_add_f64 v[10:11], v[147:148], v[10:11]
	s_mov_b32 s34, 0xd0032e0c
	s_mov_b32 s27, 0xbfe5384d
	;; [unrolled: 1-line block ×6, first 2 shown]
	v_add_f64 v[97:98], v[44:45], v[32:33]
	v_add_f64 v[107:108], v[46:47], v[34:35]
	v_add_f64 v[113:114], v[42:43], -v[38:39]
	v_mul_f64 v[171:172], v[99:100], s[26:27]
	v_mul_f64 v[175:176], v[93:94], s[26:27]
	v_fma_f64 v[173:174], v[86:87], s[24:25], v[157:158]
	v_fma_f64 v[181:182], v[101:102], s[24:25], -v[159:160]
	v_add_f64 v[0:1], v[151:152], v[0:1]
	v_add_f64 v[2:3], v[155:156], v[2:3]
	v_add_f64 v[105:106], v[40:41], -v[36:37]
	v_add_f64 v[4:5], v[161:162], v[4:5]
	v_add_f64 v[6:7], v[111:112], v[6:7]
	v_fma_f64 v[155:156], v[86:87], s[34:35], v[141:142]
	v_fma_f64 v[161:162], v[101:102], s[34:35], -v[149:150]
	v_mul_f64 v[165:166], v[99:100], s[36:37]
	v_mul_f64 v[167:168], v[93:94], s[36:37]
	v_add_f64 v[8:9], v[117:118], v[8:9]
	v_fma_f64 v[191:192], v[86:87], s[8:9], v[133:134]
	v_fma_f64 v[193:194], v[101:102], s[8:9], -v[137:138]
	v_mul_f64 v[147:148], v[99:100], s[6:7]
	v_mul_f64 v[151:152], v[93:94], s[6:7]
	v_add_f64 v[10:11], v[169:170], v[10:11]
	v_add_f64 v[111:112], v[40:41], v[36:37]
	;; [unrolled: 1-line block ×3, first 2 shown]
	v_mul_f64 v[177:178], v[113:114], s[22:23]
	v_fma_f64 v[195:196], v[97:98], s[34:35], v[171:172]
	v_fma_f64 v[197:198], v[107:108], s[34:35], -v[175:176]
	v_mul_f64 v[169:170], v[113:114], s[40:41]
	s_load_dwordx2 s[4:5], s[4:5], 0x8
	v_add_f64 v[0:1], v[173:174], v[0:1]
	v_add_f64 v[2:3], v[181:182], v[2:3]
	v_mul_f64 v[181:182], v[105:106], s[22:23]
	v_mul_f64 v[173:174], v[105:106], s[40:41]
	v_mul_lo_u16 v189, v186, 13
	v_add_f64 v[4:5], v[155:156], v[4:5]
	v_add_f64 v[6:7], v[161:162], v[6:7]
	v_mul_f64 v[155:156], v[113:114], s[26:27]
	v_mul_f64 v[161:162], v[105:106], s[26:27]
	v_fma_f64 v[199:200], v[97:98], s[18:19], v[165:166]
	v_fma_f64 v[201:202], v[107:108], s[18:19], -v[167:168]
	v_add_f64 v[8:9], v[191:192], v[8:9]
	v_fma_f64 v[191:192], v[97:98], s[10:11], v[147:148]
	v_fma_f64 v[203:204], v[107:108], s[10:11], -v[151:152]
	v_add_f64 v[10:11], v[193:194], v[10:11]
	s_waitcnt lgkmcnt(0)
	s_barrier
	v_fma_f64 v[193:194], v[111:112], s[28:29], v[177:178]
	buffer_gl0_inv
	v_fma_f64 v[207:208], v[111:112], s[8:9], v[169:170]
	v_add_f64 v[0:1], v[195:196], v[0:1]
	v_add_f64 v[2:3], v[197:198], v[2:3]
	v_fma_f64 v[205:206], v[117:118], s[28:29], -v[181:182]
	v_fma_f64 v[209:210], v[117:118], s[8:9], -v[173:174]
	v_fma_f64 v[211:212], v[111:112], s[34:35], v[155:156]
	v_fma_f64 v[213:214], v[117:118], s[34:35], -v[161:162]
	v_add_f64 v[4:5], v[199:200], v[4:5]
	v_add_f64 v[6:7], v[201:202], v[6:7]
	;; [unrolled: 1-line block ×10, first 2 shown]
	s_and_saveexec_b32 s33, vcc_lo
	s_cbranch_execz .LBB0_7
; %bb.6:
	v_add_f64 v[60:61], v[12:13], v[60:61]
	v_add_f64 v[62:63], v[14:15], v[62:63]
	s_mov_b32 s43, 0x3fcea1e5
	s_mov_b32 s42, s22
	;; [unrolled: 1-line block ×4, first 2 shown]
	v_add_f64 v[56:57], v[60:61], v[56:57]
	v_add_f64 v[58:59], v[62:63], v[58:59]
	;; [unrolled: 1-line block ×8, first 2 shown]
	v_mul_f64 v[48:49], v[84:85], s[20:21]
	v_add_f64 v[40:41], v[44:45], v[40:41]
	v_add_f64 v[42:43], v[46:47], v[42:43]
	v_mul_f64 v[44:45], v[84:85], s[22:23]
	v_mul_f64 v[46:47], v[84:85], s[26:27]
	v_fma_f64 v[54:55], v[80:81], s[24:25], -v[48:49]
	v_fma_f64 v[48:49], v[80:81], s[24:25], v[48:49]
	v_add_f64 v[36:37], v[40:41], v[36:37]
	v_add_f64 v[38:39], v[42:43], v[38:39]
	v_mul_f64 v[40:41], v[80:81], s[8:9]
	v_mul_f64 v[42:43], v[80:81], s[10:11]
	v_fma_f64 v[50:51], v[80:81], s[28:29], v[44:45]
	v_fma_f64 v[44:45], v[80:81], s[28:29], -v[44:45]
	v_fma_f64 v[52:53], v[80:81], s[34:35], v[46:47]
	v_fma_f64 v[46:47], v[80:81], s[34:35], -v[46:47]
	v_add_f64 v[48:49], v[12:13], v[48:49]
	v_add_f64 v[32:33], v[36:37], v[32:33]
	v_add_f64 v[34:35], v[38:39], v[34:35]
	v_mul_f64 v[38:39], v[89:90], s[8:9]
	v_mul_f64 v[36:37], v[89:90], s[10:11]
	v_add_f64 v[40:41], v[40:41], -v[103:104]
	v_add_f64 v[42:43], v[42:43], -v[153:154]
	v_add_f64 v[50:51], v[12:13], v[50:51]
	v_add_f64 v[44:45], v[12:13], v[44:45]
	;; [unrolled: 1-line block ×4, first 2 shown]
	v_mul_f64 v[103:104], v[113:114], s[36:37]
	v_add_f64 v[28:29], v[32:33], v[28:29]
	v_add_f64 v[30:31], v[34:35], v[30:31]
	v_mul_f64 v[34:35], v[80:81], s[18:19]
	v_add_f64 v[38:39], v[109:110], v[38:39]
	v_add_f64 v[36:37], v[163:164], v[36:37]
	v_mul_f64 v[32:33], v[89:90], s[18:19]
	v_mul_f64 v[109:110], v[117:118], s[10:11]
	v_add_f64 v[24:25], v[28:29], v[24:25]
	v_add_f64 v[26:27], v[30:31], v[26:27]
	v_mul_f64 v[28:29], v[89:90], s[24:25]
	v_add_f64 v[34:35], v[34:35], -v[179:180]
	v_add_f64 v[32:33], v[183:184], v[32:33]
	v_add_f64 v[20:21], v[24:25], v[20:21]
	v_mul_f64 v[24:25], v[89:90], s[34:35]
	v_add_f64 v[22:23], v[26:27], v[22:23]
	v_fma_f64 v[30:31], v[91:92], s[30:31], v[28:29]
	v_fma_f64 v[28:29], v[91:92], s[20:21], v[28:29]
	v_add_f64 v[34:35], v[12:13], v[34:35]
	v_add_f64 v[32:33], v[14:15], v[32:33]
	;; [unrolled: 1-line block ×3, first 2 shown]
	v_mul_f64 v[20:21], v[89:90], s[28:29]
	v_fma_f64 v[26:27], v[91:92], s[38:39], v[24:25]
	v_fma_f64 v[24:25], v[91:92], s[26:27], v[24:25]
	v_add_f64 v[18:19], v[22:23], v[18:19]
	v_add_f64 v[60:61], v[14:15], v[28:29]
	;; [unrolled: 1-line block ×4, first 2 shown]
	v_fma_f64 v[22:23], v[91:92], s[42:43], v[20:21]
	v_add_f64 v[56:57], v[14:15], v[26:27]
	v_add_f64 v[58:59], v[14:15], v[24:25]
	;; [unrolled: 1-line block ×5, first 2 shown]
	v_mul_f64 v[30:31], v[74:75], s[8:9]
	v_add_f64 v[26:27], v[12:13], v[40:41]
	v_mul_f64 v[40:41], v[78:79], s[34:35]
	v_fma_f64 v[20:21], v[91:92], s[22:23], v[20:21]
	v_mul_f64 v[91:92], v[117:118], s[18:19]
	v_add_f64 v[22:23], v[14:15], v[22:23]
	v_fma_f64 v[12:13], v[64:65], s[2:3], v[30:31]
	v_fma_f64 v[30:31], v[64:65], s[40:41], v[30:31]
	;; [unrolled: 1-line block ×3, first 2 shown]
	v_add_f64 v[20:21], v[14:15], v[20:21]
	v_add_f64 v[12:13], v[12:13], v[22:23]
	v_mul_f64 v[22:23], v[68:69], s[40:41]
	v_add_f64 v[20:21], v[30:31], v[20:21]
	v_fma_f64 v[30:31], v[70:71], s[26:27], v[40:41]
	v_fma_f64 v[40:41], v[111:112], s[18:19], -v[103:104]
	v_add_f64 v[12:13], v[42:43], v[12:13]
	v_fma_f64 v[14:15], v[66:67], s[8:9], v[22:23]
	v_mul_f64 v[42:43], v[76:77], s[26:27]
	v_fma_f64 v[22:23], v[66:67], s[8:9], -v[22:23]
	v_add_f64 v[20:21], v[30:31], v[20:21]
	v_add_f64 v[14:15], v[14:15], v[50:51]
	v_fma_f64 v[50:51], v[72:73], s[34:35], v[42:43]
	v_add_f64 v[22:23], v[22:23], v[44:45]
	v_fma_f64 v[30:31], v[72:73], s[34:35], -v[42:43]
	v_mul_f64 v[42:43], v[78:79], s[18:19]
	v_mul_f64 v[44:45], v[72:73], s[18:19]
	v_add_f64 v[14:15], v[50:51], v[14:15]
	v_mul_f64 v[50:51], v[101:102], s[10:11]
	v_add_f64 v[22:23], v[30:31], v[22:23]
	v_add_f64 v[42:43], v[145:146], v[42:43]
	v_add_f64 v[44:45], v[44:45], -v[143:144]
	v_fma_f64 v[62:63], v[82:83], s[6:7], v[50:51]
	v_fma_f64 v[30:31], v[82:83], s[44:45], v[50:51]
	v_mul_f64 v[50:51], v[101:102], s[24:25]
	v_add_f64 v[12:13], v[62:63], v[12:13]
	v_mul_f64 v[62:63], v[95:96], s[44:45]
	v_add_f64 v[20:21], v[30:31], v[20:21]
	v_add_f64 v[50:51], v[159:160], v[50:51]
	v_fma_f64 v[80:81], v[86:87], s[10:11], v[62:63]
	v_fma_f64 v[30:31], v[86:87], s[10:11], -v[62:63]
	v_mul_f64 v[62:63], v[86:87], s[24:25]
	v_add_f64 v[14:15], v[80:81], v[14:15]
	v_mul_f64 v[80:81], v[107:108], s[24:25]
	v_add_f64 v[22:23], v[30:31], v[22:23]
	v_add_f64 v[62:63], v[62:63], -v[157:158]
	v_fma_f64 v[84:85], v[93:94], s[30:31], v[80:81]
	v_fma_f64 v[30:31], v[93:94], s[20:21], v[80:81]
	v_mul_f64 v[80:81], v[107:108], s[34:35]
	v_add_f64 v[12:13], v[84:85], v[12:13]
	v_mul_f64 v[84:85], v[99:100], s[20:21]
	v_add_f64 v[20:21], v[30:31], v[20:21]
	v_add_f64 v[80:81], v[175:176], v[80:81]
	v_fma_f64 v[30:31], v[97:98], s[24:25], -v[84:85]
	v_fma_f64 v[89:90], v[97:98], s[24:25], v[84:85]
	v_mul_f64 v[84:85], v[101:102], s[18:19]
	v_add_f64 v[30:31], v[30:31], v[22:23]
	v_fma_f64 v[22:23], v[105:106], s[36:37], v[91:92]
	v_add_f64 v[89:90], v[89:90], v[14:15]
	v_fma_f64 v[14:15], v[105:106], s[16:17], v[91:92]
	v_mul_f64 v[91:92], v[107:108], s[28:29]
	v_add_f64 v[22:23], v[22:23], v[20:21]
	v_add_f64 v[20:21], v[40:41], v[30:31]
	v_mul_f64 v[30:31], v[74:75], s[10:11]
	v_mul_f64 v[40:41], v[66:67], s[10:11]
	v_add_f64 v[14:15], v[14:15], v[12:13]
	v_fma_f64 v[12:13], v[111:112], s[18:19], v[103:104]
	v_mul_f64 v[103:104], v[99:100], s[42:43]
	v_add_f64 v[30:31], v[139:140], v[30:31]
	v_add_f64 v[40:41], v[40:41], -v[135:136]
	v_add_f64 v[12:13], v[12:13], v[89:90]
	v_mul_f64 v[89:90], v[95:96], s[16:17]
	v_add_f64 v[24:25], v[30:31], v[24:25]
	v_add_f64 v[26:27], v[40:41], v[26:27]
	v_mul_f64 v[30:31], v[97:98], s[34:35]
	v_mul_f64 v[40:41], v[117:118], s[28:29]
	v_add_f64 v[24:25], v[42:43], v[24:25]
	v_add_f64 v[26:27], v[44:45], v[26:27]
	v_add_f64 v[30:31], v[30:31], -v[171:172]
	v_mul_f64 v[42:43], v[111:112], s[28:29]
	v_add_f64 v[40:41], v[181:182], v[40:41]
	v_mul_f64 v[44:45], v[72:73], s[28:29]
	v_add_f64 v[24:25], v[50:51], v[24:25]
	v_add_f64 v[26:27], v[62:63], v[26:27]
	v_mul_f64 v[50:51], v[101:102], s[34:35]
	v_add_f64 v[42:43], v[42:43], -v[177:178]
	v_mul_f64 v[62:63], v[86:87], s[34:35]
	v_add_f64 v[44:45], v[44:45], -v[129:130]
	v_add_f64 v[24:25], v[80:81], v[24:25]
	v_add_f64 v[30:31], v[30:31], v[26:27]
	;; [unrolled: 1-line block ×3, first 2 shown]
	v_mul_f64 v[80:81], v[107:108], s[18:19]
	v_add_f64 v[62:63], v[62:63], -v[141:142]
	v_add_f64 v[26:27], v[40:41], v[24:25]
	v_add_f64 v[24:25], v[42:43], v[30:31]
	v_mul_f64 v[30:31], v[74:75], s[24:25]
	v_mul_f64 v[40:41], v[66:67], s[24:25]
	;; [unrolled: 1-line block ×3, first 2 shown]
	v_add_f64 v[80:81], v[167:168], v[80:81]
	v_add_f64 v[30:31], v[125:126], v[30:31]
	v_add_f64 v[40:41], v[40:41], -v[121:122]
	v_add_f64 v[42:43], v[131:132], v[42:43]
	v_add_f64 v[28:29], v[30:31], v[28:29]
	;; [unrolled: 1-line block ×3, first 2 shown]
	v_mul_f64 v[36:37], v[97:98], s[18:19]
	v_mul_f64 v[40:41], v[117:118], s[8:9]
	v_add_f64 v[28:29], v[42:43], v[28:29]
	v_add_f64 v[30:31], v[44:45], v[30:31]
	v_add_f64 v[36:37], v[36:37], -v[165:166]
	v_mul_f64 v[42:43], v[111:112], s[8:9]
	v_add_f64 v[40:41], v[173:174], v[40:41]
	v_mul_f64 v[44:45], v[72:73], s[24:25]
	v_add_f64 v[28:29], v[50:51], v[28:29]
	v_add_f64 v[30:31], v[62:63], v[30:31]
	v_mul_f64 v[50:51], v[101:102], s[8:9]
	v_add_f64 v[42:43], v[42:43], -v[169:170]
	v_mul_f64 v[62:63], v[86:87], s[8:9]
	v_add_f64 v[44:45], v[44:45], -v[123:124]
	v_add_f64 v[28:29], v[80:81], v[28:29]
	v_add_f64 v[36:37], v[36:37], v[30:31]
	;; [unrolled: 1-line block ×3, first 2 shown]
	v_mul_f64 v[80:81], v[107:108], s[10:11]
	v_add_f64 v[62:63], v[62:63], -v[133:134]
	v_add_f64 v[30:31], v[40:41], v[28:29]
	v_add_f64 v[28:29], v[42:43], v[36:37]
	v_mul_f64 v[36:37], v[74:75], s[28:29]
	v_mul_f64 v[40:41], v[66:67], s[28:29]
	;; [unrolled: 1-line block ×3, first 2 shown]
	v_add_f64 v[80:81], v[151:152], v[80:81]
	v_add_f64 v[36:37], v[119:120], v[36:37]
	v_add_f64 v[40:41], v[40:41], -v[115:116]
	v_add_f64 v[42:43], v[127:128], v[42:43]
	v_mul_f64 v[115:116], v[113:114], s[44:45]
	v_add_f64 v[32:33], v[36:37], v[32:33]
	v_add_f64 v[34:35], v[40:41], v[34:35]
	v_mul_f64 v[36:37], v[97:98], s[10:11]
	v_mul_f64 v[40:41], v[117:118], s[34:35]
	v_add_f64 v[32:33], v[42:43], v[32:33]
	v_add_f64 v[34:35], v[44:45], v[34:35]
	v_add_f64 v[36:37], v[36:37], -v[147:148]
	v_mul_f64 v[42:43], v[111:112], s[34:35]
	v_add_f64 v[40:41], v[161:162], v[40:41]
	v_mul_f64 v[44:45], v[74:75], s[18:19]
	v_add_f64 v[32:33], v[50:51], v[32:33]
	v_add_f64 v[34:35], v[62:63], v[34:35]
	v_mul_f64 v[50:51], v[74:75], s[34:35]
	v_add_f64 v[42:43], v[42:43], -v[155:156]
	v_mul_f64 v[62:63], v[78:79], s[8:9]
	v_add_f64 v[32:33], v[80:81], v[32:33]
	v_add_f64 v[36:37], v[36:37], v[34:35]
	v_mul_f64 v[80:81], v[76:77], s[40:41]
	v_add_f64 v[34:35], v[40:41], v[32:33]
	v_add_f64 v[32:33], v[42:43], v[36:37]
	v_fma_f64 v[36:37], v[64:65], s[38:39], v[50:51]
	v_fma_f64 v[50:51], v[64:65], s[26:27], v[50:51]
	v_add_f64 v[36:37], v[36:37], v[60:61]
	v_mul_f64 v[60:61], v[68:69], s[38:39]
	v_mul_f64 v[68:69], v[68:69], s[36:37]
	v_add_f64 v[50:51], v[50:51], v[54:55]
	v_fma_f64 v[54:55], v[72:73], s[8:9], v[80:81]
	v_fma_f64 v[40:41], v[66:67], s[34:35], -v[60:61]
	v_add_f64 v[38:39], v[40:41], v[38:39]
	v_fma_f64 v[40:41], v[70:71], s[40:41], v[62:63]
	v_add_f64 v[36:37], v[40:41], v[36:37]
	v_fma_f64 v[40:41], v[72:73], s[8:9], -v[80:81]
	v_add_f64 v[38:39], v[40:41], v[38:39]
	v_fma_f64 v[40:41], v[82:83], s[16:17], v[84:85]
	v_add_f64 v[36:37], v[40:41], v[36:37]
	;; [unrolled: 4-line block ×4, first 2 shown]
	v_fma_f64 v[36:37], v[111:112], s[10:11], -v[115:116]
	v_add_f64 v[36:37], v[36:37], v[40:41]
	v_fma_f64 v[40:41], v[64:65], s[36:37], v[44:45]
	v_fma_f64 v[44:45], v[64:65], s[16:17], v[44:45]
	v_add_f64 v[40:41], v[40:41], v[58:59]
	v_mul_f64 v[58:59], v[78:79], s[10:11]
	v_add_f64 v[44:45], v[44:45], v[56:57]
	v_fma_f64 v[56:57], v[66:67], s[18:19], v[68:69]
	v_fma_f64 v[42:43], v[70:71], s[6:7], v[58:59]
	v_add_f64 v[52:53], v[56:57], v[52:53]
	v_fma_f64 v[56:57], v[70:71], s[44:45], v[58:59]
	v_add_f64 v[40:41], v[42:43], v[40:41]
	v_fma_f64 v[42:43], v[66:67], s[18:19], -v[68:69]
	v_add_f64 v[44:45], v[56:57], v[44:45]
	v_add_f64 v[42:43], v[42:43], v[46:47]
	v_mul_f64 v[46:47], v[101:102], s[28:29]
	v_mul_f64 v[101:102], v[117:118], s[24:25]
	v_fma_f64 v[74:75], v[82:83], s[42:43], v[46:47]
	v_fma_f64 v[46:47], v[82:83], s[22:23], v[46:47]
	v_add_f64 v[40:41], v[74:75], v[40:41]
	v_mul_f64 v[74:75], v[76:77], s[6:7]
	v_add_f64 v[44:45], v[46:47], v[44:45]
	v_fma_f64 v[76:77], v[72:73], s[10:11], -v[74:75]
	v_fma_f64 v[56:57], v[72:73], s[10:11], v[74:75]
	v_add_f64 v[42:43], v[76:77], v[42:43]
	v_mul_f64 v[76:77], v[107:108], s[8:9]
	v_add_f64 v[52:53], v[56:57], v[52:53]
	v_mul_f64 v[107:108], v[113:114], s[20:21]
	v_fma_f64 v[78:79], v[93:94], s[40:41], v[76:77]
	v_fma_f64 v[56:57], v[111:112], s[24:25], v[107:108]
	v_add_f64 v[40:41], v[78:79], v[40:41]
	v_mul_f64 v[78:79], v[95:96], s[42:43]
	v_fma_f64 v[95:96], v[86:87], s[28:29], -v[78:79]
	v_fma_f64 v[46:47], v[86:87], s[28:29], v[78:79]
	v_add_f64 v[42:43], v[95:96], v[42:43]
	v_mul_f64 v[95:96], v[99:100], s[40:41]
	v_add_f64 v[46:47], v[46:47], v[52:53]
	v_fma_f64 v[52:53], v[93:94], s[2:3], v[76:77]
	v_fma_f64 v[99:100], v[97:98], s[8:9], -v[95:96]
	v_add_f64 v[44:45], v[52:53], v[44:45]
	v_fma_f64 v[52:53], v[97:98], s[8:9], v[95:96]
	v_add_f64 v[99:100], v[99:100], v[42:43]
	v_fma_f64 v[42:43], v[105:106], s[20:21], v[101:102]
	;; [unrolled: 2-line block ×3, first 2 shown]
	v_add_f64 v[42:43], v[42:43], v[40:41]
	v_fma_f64 v[40:41], v[111:112], s[24:25], -v[107:108]
	v_add_f64 v[46:47], v[46:47], v[44:45]
	v_add_f64 v[44:45], v[56:57], v[52:53]
	v_fma_f64 v[52:53], v[66:67], s[34:35], v[60:61]
	v_fma_f64 v[56:57], v[70:71], s[2:3], v[62:63]
	v_add_f64 v[40:41], v[40:41], v[99:100]
	v_add_f64 v[48:49], v[52:53], v[48:49]
	v_fma_f64 v[52:53], v[82:83], s[36:37], v[84:85]
	v_add_f64 v[50:51], v[56:57], v[50:51]
	v_fma_f64 v[56:57], v[86:87], s[18:19], v[89:90]
	;; [unrolled: 2-line block ×6, first 2 shown]
	v_add_f64 v[48:49], v[52:53], v[48:49]
	v_and_b32_e32 v52, 0xffff, v189
	v_add_f64 v[50:51], v[56:57], v[50:51]
	v_add_lshl_u32 v52, v190, v52, 4
	v_add_f64 v[48:49], v[54:55], v[48:49]
	ds_write_b128 v52, v[16:19]
	ds_write_b128 v52, v[24:27] offset:16
	ds_write_b128 v52, v[28:31] offset:32
	;; [unrolled: 1-line block ×12, first 2 shown]
.LBB0_7:
	s_or_b32 exec_lo, exec_lo, s33
	v_mad_u64_u32 v[32:33], null, 0x90, v186, s[4:5]
	s_load_dwordx4 s[4:7], s[0:1], 0x0
	s_waitcnt lgkmcnt(0)
	s_barrier
	buffer_gl0_inv
	v_add_lshl_u32 v138, v190, v186, 4
	s_mov_b32 s0, 0x134454ff
	s_clause 0x8
	global_load_dwordx4 v[16:19], v[32:33], off offset:32
	global_load_dwordx4 v[24:27], v[32:33], off offset:64
	;; [unrolled: 1-line block ×4, first 2 shown]
	global_load_dwordx4 v[12:15], v[32:33], off
	global_load_dwordx4 v[44:47], v[32:33], off offset:16
	global_load_dwordx4 v[40:43], v[32:33], off offset:48
	;; [unrolled: 1-line block ×4, first 2 shown]
	ds_read_b128 v[48:51], v138 offset:624
	ds_read_b128 v[52:55], v138 offset:1040
	;; [unrolled: 1-line block ×9, first 2 shown]
	s_mov_b32 s1, 0x3fee6f0e
	s_mov_b32 s11, 0xbfee6f0e
	;; [unrolled: 1-line block ×11, first 2 shown]
	v_lshl_add_u32 v137, v186, 4, v188
	s_waitcnt vmcnt(8) lgkmcnt(8)
	v_mul_f64 v[84:85], v[50:51], v[18:19]
	v_mul_f64 v[86:87], v[48:49], v[18:19]
	s_waitcnt vmcnt(7) lgkmcnt(7)
	v_mul_f64 v[89:90], v[54:55], v[26:27]
	v_mul_f64 v[91:92], v[52:53], v[26:27]
	s_waitcnt vmcnt(6) lgkmcnt(6)
	v_mul_f64 v[93:94], v[58:59], v[22:23]
	v_mul_f64 v[95:96], v[56:57], v[22:23]
	s_waitcnt vmcnt(5) lgkmcnt(5)
	v_mul_f64 v[97:98], v[60:61], v[30:31]
	v_mul_f64 v[99:100], v[62:63], v[30:31]
	s_waitcnt vmcnt(4) lgkmcnt(4)
	v_mul_f64 v[101:102], v[66:67], v[14:15]
	v_mul_f64 v[103:104], v[64:65], v[14:15]
	s_waitcnt vmcnt(3) lgkmcnt(3)
	v_mul_f64 v[105:106], v[70:71], v[46:47]
	v_mul_f64 v[107:108], v[68:69], v[46:47]
	s_waitcnt vmcnt(2) lgkmcnt(2)
	v_mul_f64 v[109:110], v[74:75], v[42:43]
	v_mul_f64 v[111:112], v[72:73], v[42:43]
	s_waitcnt vmcnt(1) lgkmcnt(1)
	v_mul_f64 v[113:114], v[78:79], v[38:39]
	v_mul_f64 v[115:116], v[76:77], v[38:39]
	s_waitcnt vmcnt(0) lgkmcnt(0)
	v_mul_f64 v[117:118], v[80:81], v[34:35]
	v_fma_f64 v[84:85], v[48:49], v[16:17], -v[84:85]
	v_fma_f64 v[86:87], v[50:51], v[16:17], v[86:87]
	v_fma_f64 v[52:53], v[52:53], v[24:25], -v[89:90]
	v_fma_f64 v[54:55], v[54:55], v[24:25], v[91:92]
	;; [unrolled: 2-line block ×3, first 2 shown]
	v_fma_f64 v[62:63], v[62:63], v[28:29], v[97:98]
	v_fma_f64 v[60:61], v[60:61], v[28:29], -v[99:100]
	v_mul_f64 v[89:90], v[82:83], v[34:35]
	v_fma_f64 v[64:65], v[64:65], v[12:13], -v[101:102]
	v_fma_f64 v[66:67], v[66:67], v[12:13], v[103:104]
	v_fma_f64 v[68:69], v[68:69], v[44:45], -v[105:106]
	v_fma_f64 v[70:71], v[70:71], v[44:45], v[107:108]
	;; [unrolled: 2-line block ×4, first 2 shown]
	v_fma_f64 v[82:83], v[82:83], v[32:33], v[117:118]
	ds_read_b128 v[48:51], v138
	v_add_f64 v[131:132], v[84:85], -v[52:53]
	v_add_f64 v[135:136], v[52:53], -v[84:85]
	v_add_f64 v[91:92], v[52:53], v[56:57]
	v_add_f64 v[93:94], v[54:55], v[58:59]
	;; [unrolled: 1-line block ×4, first 2 shown]
	v_fma_f64 v[80:81], v[80:81], v[32:33], -v[89:90]
	v_add_f64 v[105:106], v[86:87], -v[62:63]
	v_add_f64 v[107:108], v[54:55], -v[58:59]
	;; [unrolled: 1-line block ×6, first 2 shown]
	v_add_f64 v[99:100], v[72:73], v[76:77]
	v_add_f64 v[125:126], v[74:75], v[78:79]
	;; [unrolled: 1-line block ×3, first 2 shown]
	v_add_f64 v[141:142], v[86:87], -v[54:55]
	v_add_f64 v[143:144], v[62:63], -v[58:59]
	;; [unrolled: 1-line block ×4, first 2 shown]
	s_waitcnt lgkmcnt(0)
	v_add_f64 v[89:90], v[48:49], v[68:69]
	v_add_f64 v[101:102], v[70:71], -v[82:83]
	v_add_f64 v[103:104], v[74:75], -v[78:79]
	;; [unrolled: 1-line block ×3, first 2 shown]
	v_fma_f64 v[91:92], v[91:92], -0.5, v[64:65]
	v_fma_f64 v[93:94], v[93:94], -0.5, v[66:67]
	;; [unrolled: 1-line block ×4, first 2 shown]
	v_add_f64 v[117:118], v[68:69], v[80:81]
	v_add_f64 v[115:116], v[80:81], -v[76:77]
	v_add_f64 v[119:120], v[72:73], -v[68:69]
	;; [unrolled: 1-line block ×3, first 2 shown]
	v_add_f64 v[123:124], v[50:51], v[70:71]
	v_add_f64 v[68:69], v[68:69], -v[80:81]
	v_add_f64 v[127:128], v[72:73], -v[76:77]
	v_add_f64 v[64:65], v[64:65], v[84:85]
	v_add_f64 v[66:67], v[66:67], v[86:87]
	v_fma_f64 v[84:85], v[99:100], -0.5, v[48:49]
	v_fma_f64 v[86:87], v[125:126], -0.5, v[50:51]
	;; [unrolled: 1-line block ×3, first 2 shown]
	v_add_f64 v[99:100], v[131:132], v[133:134]
	v_add_f64 v[125:126], v[141:142], v[143:144]
	;; [unrolled: 1-line block ×3, first 2 shown]
	v_add_f64 v[157:158], v[70:71], -v[74:75]
	v_add_f64 v[159:160], v[82:83], -v[78:79]
	;; [unrolled: 1-line block ×3, first 2 shown]
	v_fma_f64 v[155:156], v[105:106], s[10:11], v[91:92]
	v_fma_f64 v[149:150], v[109:110], s[10:11], v[93:94]
	;; [unrolled: 1-line block ×8, first 2 shown]
	v_fma_f64 v[48:49], v[117:118], -0.5, v[48:49]
	v_add_f64 v[117:118], v[135:136], v[139:140]
	v_add_f64 v[161:162], v[78:79], -v[82:83]
	v_add_f64 v[72:73], v[89:90], v[72:73]
	v_add_f64 v[89:90], v[113:114], v[115:116]
	;; [unrolled: 1-line block ×5, first 2 shown]
	v_fma_f64 v[64:65], v[101:102], s[0:1], v[84:85]
	v_fma_f64 v[66:67], v[101:102], s[10:11], v[84:85]
	v_fma_f64 v[139:140], v[107:108], s[16:17], v[155:156]
	v_fma_f64 v[131:132], v[111:112], s[16:17], v[149:150]
	v_fma_f64 v[133:134], v[109:110], s[16:17], v[151:152]
	v_fma_f64 v[135:136], v[105:106], s[16:17], v[153:154]
	v_fma_f64 v[91:92], v[107:108], s[2:3], v[91:92]
	v_fma_f64 v[97:98], v[105:106], s[2:3], v[97:98]
	v_fma_f64 v[95:96], v[109:110], s[2:3], v[95:96]
	v_fma_f64 v[93:94], v[111:112], s[2:3], v[93:94]
	v_add_f64 v[105:106], v[119:120], v[121:122]
	v_fma_f64 v[84:85], v[103:104], s[10:11], v[48:49]
	v_fma_f64 v[48:49], v[103:104], s[0:1], v[48:49]
	;; [unrolled: 1-line block ×6, first 2 shown]
	v_add_f64 v[70:71], v[70:71], v[161:162]
	v_add_f64 v[72:73], v[72:73], v[76:77]
	;; [unrolled: 1-line block ×5, first 2 shown]
	v_fma_f64 v[56:57], v[103:104], s[2:3], v[64:65]
	v_fma_f64 v[58:59], v[103:104], s[16:17], v[66:67]
	v_fma_f64 v[119:120], v[99:100], s[8:9], v[139:140]
	v_fma_f64 v[111:112], v[125:126], s[8:9], v[131:132]
	v_fma_f64 v[113:114], v[129:130], s[8:9], v[133:134]
	v_fma_f64 v[115:116], v[117:118], s[8:9], v[135:136]
	v_fma_f64 v[91:92], v[99:100], s[8:9], v[91:92]
	v_fma_f64 v[97:98], v[117:118], s[8:9], v[97:98]
	v_fma_f64 v[95:96], v[129:130], s[8:9], v[95:96]
	v_fma_f64 v[93:94], v[125:126], s[8:9], v[93:94]
	v_add_f64 v[99:100], v[157:158], v[159:160]
	v_fma_f64 v[64:65], v[101:102], s[2:3], v[84:85]
	v_fma_f64 v[48:49], v[101:102], s[16:17], v[48:49]
	;; [unrolled: 1-line block ×6, first 2 shown]
	v_add_f64 v[72:73], v[72:73], v[80:81]
	v_add_f64 v[74:75], v[74:75], v[82:83]
	;; [unrolled: 1-line block ×4, first 2 shown]
	v_fma_f64 v[56:57], v[89:90], s[8:9], v[56:57]
	v_fma_f64 v[58:59], v[89:90], s[8:9], v[58:59]
	v_mul_f64 v[101:102], v[119:120], s[18:19]
	v_mul_f64 v[68:69], v[111:112], s[2:3]
	;; [unrolled: 1-line block ×8, first 2 shown]
	v_fma_f64 v[64:65], v[105:106], s[8:9], v[64:65]
	v_fma_f64 v[89:90], v[105:106], s[8:9], v[48:49]
	;; [unrolled: 1-line block ×6, first 2 shown]
	v_add_f64 v[48:49], v[72:73], v[52:53]
	v_add_f64 v[50:51], v[74:75], v[54:55]
	v_add_f64 v[60:61], v[72:73], -v[52:53]
	v_add_f64 v[62:63], v[74:75], -v[54:55]
	v_fma_f64 v[93:94], v[93:94], s[2:3], -v[101:102]
	v_fma_f64 v[68:69], v[91:92], s[18:19], v[68:69]
	v_fma_f64 v[70:71], v[97:98], s[8:9], v[84:85]
	v_fma_f64 v[91:92], v[95:96], s[0:1], -v[86:87]
	v_fma_f64 v[95:96], v[111:112], s[18:19], v[103:104]
	v_fma_f64 v[97:98], v[113:114], s[8:9], v[107:108]
	v_fma_f64 v[101:102], v[115:116], s[10:11], -v[109:110]
	v_fma_f64 v[103:104], v[119:120], s[16:17], -v[117:118]
	v_add_f64 v[72:73], v[58:59], v[93:94]
	v_add_f64 v[84:85], v[56:57], v[68:69]
	v_add_f64 v[80:81], v[64:65], v[70:71]
	v_add_f64 v[76:77], v[89:90], v[91:92]
	v_add_f64 v[86:87], v[66:67], v[95:96]
	v_add_f64 v[82:83], v[105:106], v[97:98]
	v_add_f64 v[78:79], v[121:122], v[101:102]
	v_add_f64 v[74:75], v[99:100], v[103:104]
	v_add_f64 v[68:69], v[56:57], -v[68:69]
	v_add_f64 v[64:65], v[64:65], -v[70:71]
	v_add_f64 v[56:57], v[89:90], -v[91:92]
	v_add_f64 v[52:53], v[58:59], -v[93:94]
	v_add_f64 v[70:71], v[66:67], -v[95:96]
	v_add_f64 v[66:67], v[105:106], -v[97:98]
	v_add_f64 v[58:59], v[121:122], -v[101:102]
	v_add_f64 v[54:55], v[99:100], -v[103:104]
	ds_write_b128 v137, v[48:51]
	ds_write_b128 v137, v[60:63] offset:1040
	ds_write_b128 v137, v[84:87] offset:208
	;; [unrolled: 1-line block ×9, first 2 shown]
	s_waitcnt lgkmcnt(0)
	s_barrier
	buffer_gl0_inv
	s_and_saveexec_b32 s1, vcc_lo
	s_cbranch_execz .LBB0_9
; %bb.8:
	v_add_co_u32 v91, s0, s14, v187
	v_add_co_ci_u32_e64 v92, null, s15, 0, s0
	v_add_co_u32 v89, s0, 0x800, v91
	v_add_co_ci_u32_e64 v90, s0, 0, v92, s0
	v_add_co_u32 v139, s0, 0x820, v91
	v_add_co_ci_u32_e64 v140, s0, 0, v92, s0
	s_clause 0xc
	global_load_dwordx4 v[89:92], v[89:90], off offset:32
	global_load_dwordx4 v[93:96], v[139:140], off offset:160
	;; [unrolled: 1-line block ×13, first 2 shown]
	ds_read_b128 v[143:146], v137
	ds_read_b128 v[147:150], v137 offset:160
	ds_read_b128 v[151:154], v137 offset:320
	;; [unrolled: 1-line block ×12, first 2 shown]
	s_waitcnt vmcnt(12) lgkmcnt(12)
	v_mul_f64 v[183:184], v[145:146], v[91:92]
	v_mul_f64 v[91:92], v[143:144], v[91:92]
	s_waitcnt vmcnt(11) lgkmcnt(11)
	v_mul_f64 v[202:203], v[149:150], v[95:96]
	v_mul_f64 v[95:96], v[147:148], v[95:96]
	s_waitcnt vmcnt(10) lgkmcnt(10)
	v_mul_f64 v[204:205], v[153:154], v[99:100]
	v_mul_f64 v[99:100], v[151:152], v[99:100]
	s_waitcnt vmcnt(9) lgkmcnt(9)
	v_mul_f64 v[206:207], v[157:158], v[103:104]
	v_mul_f64 v[103:104], v[155:156], v[103:104]
	s_waitcnt vmcnt(8) lgkmcnt(8)
	v_mul_f64 v[208:209], v[161:162], v[107:108]
	v_mul_f64 v[107:108], v[159:160], v[107:108]
	s_waitcnt vmcnt(7) lgkmcnt(7)
	v_mul_f64 v[210:211], v[165:166], v[111:112]
	v_mul_f64 v[111:112], v[163:164], v[111:112]
	s_waitcnt vmcnt(6) lgkmcnt(6)
	v_mul_f64 v[212:213], v[169:170], v[115:116]
	v_mul_f64 v[115:116], v[167:168], v[115:116]
	s_waitcnt vmcnt(5) lgkmcnt(5)
	v_mul_f64 v[214:215], v[173:174], v[119:120]
	v_mul_f64 v[119:120], v[171:172], v[119:120]
	s_waitcnt vmcnt(4) lgkmcnt(4)
	v_mul_f64 v[216:217], v[177:178], v[123:124]
	v_mul_f64 v[123:124], v[175:176], v[123:124]
	s_waitcnt vmcnt(3) lgkmcnt(3)
	v_mul_f64 v[218:219], v[181:182], v[127:128]
	v_mul_f64 v[127:128], v[179:180], v[127:128]
	s_waitcnt vmcnt(2) lgkmcnt(2)
	v_mul_f64 v[220:221], v[192:193], v[131:132]
	v_mul_f64 v[131:132], v[190:191], v[131:132]
	s_waitcnt vmcnt(1) lgkmcnt(1)
	v_mul_f64 v[222:223], v[196:197], v[135:136]
	v_mul_f64 v[135:136], v[194:195], v[135:136]
	s_waitcnt vmcnt(0) lgkmcnt(0)
	v_mul_f64 v[224:225], v[200:201], v[141:142]
	v_mul_f64 v[226:227], v[198:199], v[141:142]
	v_fma_f64 v[141:142], v[143:144], v[89:90], -v[183:184]
	v_fma_f64 v[143:144], v[145:146], v[89:90], v[91:92]
	v_fma_f64 v[89:90], v[147:148], v[93:94], -v[202:203]
	v_fma_f64 v[91:92], v[149:150], v[93:94], v[95:96]
	;; [unrolled: 2-line block ×13, first 2 shown]
	ds_write_b128 v137, v[141:144]
	ds_write_b128 v137, v[89:92] offset:160
	ds_write_b128 v137, v[93:96] offset:320
	;; [unrolled: 1-line block ×12, first 2 shown]
.LBB0_9:
	s_or_b32 exec_lo, exec_lo, s1
	s_waitcnt lgkmcnt(0)
	s_barrier
	buffer_gl0_inv
	s_and_saveexec_b32 s0, vcc_lo
	s_cbranch_execz .LBB0_11
; %bb.10:
	ds_read_b128 v[48:51], v137
	ds_read_b128 v[84:87], v137 offset:160
	ds_read_b128 v[80:83], v137 offset:320
	;; [unrolled: 1-line block ×12, first 2 shown]
.LBB0_11:
	s_or_b32 exec_lo, exec_lo, s0
	s_waitcnt lgkmcnt(0)
	s_barrier
	buffer_gl0_inv
	s_and_saveexec_b32 s33, vcc_lo
	s_cbranch_execz .LBB0_13
; %bb.12:
	v_add_f64 v[101:102], v[84:85], -v[0:1]
	v_add_f64 v[121:122], v[86:87], -v[2:3]
	s_mov_b32 s8, 0x4bc48dbf
	s_mov_b32 s9, 0xbfcea1e5
	v_add_f64 v[119:120], v[80:81], -v[4:5]
	v_add_f64 v[117:118], v[82:83], -v[6:7]
	v_add_f64 v[109:110], v[86:87], v[2:3]
	v_add_f64 v[107:108], v[84:85], v[0:1]
	s_mov_b32 s0, 0x93053d00
	s_mov_b32 s29, 0x3fddbe06
	;; [unrolled: 1-line block ×4, first 2 shown]
	v_add_f64 v[111:112], v[76:77], -v[8:9]
	v_add_f64 v[103:104], v[82:83], v[6:7]
	v_add_f64 v[115:116], v[78:79], -v[10:11]
	v_add_f64 v[105:106], v[80:81], v[4:5]
	s_mov_b32 s18, 0x24c2f84
	s_mov_b32 s19, 0xbfe5384d
	;; [unrolled: 1-line block ×4, first 2 shown]
	v_add_f64 v[99:100], v[72:73], -v[52:53]
	v_add_f64 v[129:130], v[78:79], v[10:11]
	v_mul_f64 v[113:114], v[101:102], s[8:9]
	v_mul_f64 v[123:124], v[121:122], s[8:9]
	;; [unrolled: 1-line block ×6, first 2 shown]
	v_add_f64 v[135:136], v[74:75], -v[54:55]
	v_add_f64 v[131:132], v[76:77], v[8:9]
	s_mov_b32 s16, 0x66966769
	s_mov_b32 s24, 0xd0032e0c
	;; [unrolled: 1-line block ×4, first 2 shown]
	v_mul_f64 v[145:146], v[111:112], s[18:19]
	s_mov_b32 s30, 0x42a4c3d2
	v_mul_f64 v[147:148], v[115:116], s[18:19]
	s_mov_b32 s31, 0x3fea55e2
	v_mul_f64 v[151:152], v[117:118], s[16:17]
	v_add_f64 v[97:98], v[60:61], -v[56:57]
	v_add_f64 v[95:96], v[74:75], v[54:55]
	v_mul_f64 v[149:150], v[119:120], s[16:17]
	v_mul_f64 v[169:170], v[99:100], s[30:31]
	s_mov_b32 s2, 0xebaa3ed8
	v_fma_f64 v[133:134], v[109:110], s[0:1], v[113:114]
	v_fma_f64 v[143:144], v[107:108], s[0:1], -v[123:124]
	v_fma_f64 v[113:114], v[109:110], s[0:1], -v[113:114]
	v_fma_f64 v[123:124], v[107:108], s[0:1], v[123:124]
	v_fma_f64 v[153:154], v[103:104], s[22:23], v[125:126]
	v_fma_f64 v[155:156], v[105:106], s[22:23], -v[127:128]
	v_fma_f64 v[125:126], v[103:104], s[22:23], -v[125:126]
	v_fma_f64 v[157:158], v[105:106], s[22:23], v[127:128]
	v_fma_f64 v[161:162], v[107:108], s[24:25], -v[141:142]
	v_fma_f64 v[159:160], v[109:110], s[24:25], v[139:140]
	v_add_f64 v[127:128], v[72:73], v[52:53]
	v_mul_f64 v[171:172], v[135:136], s[30:31]
	v_fma_f64 v[177:178], v[129:130], s[24:25], v[145:146]
	v_fma_f64 v[145:146], v[129:130], s[24:25], -v[145:146]
	v_fma_f64 v[179:180], v[131:132], s[24:25], -v[147:148]
	v_fma_f64 v[147:148], v[131:132], s[24:25], v[147:148]
	s_mov_b32 s3, 0x3fbedb7d
	s_mov_b32 s35, 0xbfea55e2
	;; [unrolled: 1-line block ×5, first 2 shown]
	v_mul_f64 v[175:176], v[115:116], s[34:35]
	v_add_f64 v[163:164], v[50:51], v[133:134]
	v_add_f64 v[143:144], v[48:49], v[143:144]
	;; [unrolled: 1-line block ×4, first 2 shown]
	v_add_f64 v[133:134], v[62:63], -v[58:59]
	v_fma_f64 v[183:184], v[105:106], s[2:3], -v[151:152]
	v_add_f64 v[93:94], v[68:69], -v[64:65]
	v_add_f64 v[91:92], v[62:63], v[58:59]
	v_add_f64 v[161:162], v[48:49], v[161:162]
	v_add_f64 v[123:124], v[70:71], -v[66:67]
	v_mul_f64 v[173:174], v[111:112], s[34:35]
	v_fma_f64 v[181:182], v[103:104], s[2:3], v[149:150]
	v_add_f64 v[159:160], v[50:51], v[159:160]
	v_fma_f64 v[192:193], v[95:96], s[26:27], v[169:170]
	v_fma_f64 v[194:195], v[127:128], s[26:27], -v[171:172]
	v_fma_f64 v[169:170], v[95:96], s[26:27], -v[169:170]
	v_fma_f64 v[171:172], v[127:128], s[26:27], v[171:172]
	s_mov_b32 s41, 0x3fcea1e5
	s_mov_b32 s40, s8
	;; [unrolled: 1-line block ×4, first 2 shown]
	v_mul_f64 v[190:191], v[135:136], s[40:41]
	v_add_f64 v[153:154], v[153:154], v[163:164]
	v_add_f64 v[143:144], v[155:156], v[143:144]
	;; [unrolled: 1-line block ×5, first 2 shown]
	v_mul_f64 v[163:164], v[97:98], s[20:21]
	v_mul_f64 v[165:166], v[133:134], s[20:21]
	v_fma_f64 v[198:199], v[131:132], s[26:27], -v[175:176]
	v_add_f64 v[161:162], v[183:184], v[161:162]
	v_add_f64 v[89:90], v[70:71], v[66:67]
	;; [unrolled: 1-line block ×3, first 2 shown]
	v_mul_f64 v[167:168], v[99:100], s[40:41]
	v_fma_f64 v[196:197], v[129:130], s[26:27], v[173:174]
	v_add_f64 v[159:160], v[181:182], v[159:160]
	v_fma_f64 v[139:140], v[109:110], s[24:25], -v[139:140]
	v_mul_f64 v[200:201], v[101:102], s[20:21]
	v_fma_f64 v[141:142], v[107:108], s[24:25], v[141:142]
	s_mov_b32 s39, 0xbfefc445
	s_mov_b32 s37, 0x3fe5384d
	;; [unrolled: 1-line block ×4, first 2 shown]
	v_fma_f64 v[208:209], v[127:128], s[0:1], -v[190:191]
	v_add_f64 v[153:154], v[177:178], v[153:154]
	v_add_f64 v[143:144], v[179:180], v[143:144]
	;; [unrolled: 1-line block ×4, first 2 shown]
	v_mul_f64 v[155:156], v[93:94], s[16:17]
	v_mul_f64 v[157:158], v[123:124], s[16:17]
	v_fma_f64 v[202:203], v[91:92], s[10:11], v[163:164]
	v_fma_f64 v[204:205], v[125:126], s[10:11], -v[165:166]
	v_fma_f64 v[163:164], v[91:92], s[10:11], -v[163:164]
	v_fma_f64 v[165:166], v[125:126], s[10:11], v[165:166]
	v_add_f64 v[161:162], v[198:199], v[161:162]
	v_mul_f64 v[179:180], v[97:98], s[28:29]
	v_mul_f64 v[183:184], v[133:134], s[28:29]
	v_fma_f64 v[206:207], v[95:96], s[0:1], v[167:168]
	v_add_f64 v[159:160], v[196:197], v[159:160]
	v_fma_f64 v[149:150], v[103:104], s[2:3], -v[149:150]
	v_add_f64 v[139:140], v[50:51], v[139:140]
	v_mul_f64 v[196:197], v[101:102], s[38:39]
	v_fma_f64 v[212:213], v[109:110], s[10:11], v[200:201]
	v_fma_f64 v[151:152], v[105:106], s[2:3], v[151:152]
	v_add_f64 v[141:142], v[48:49], v[141:142]
	v_fma_f64 v[200:201], v[109:110], s[10:11], -v[200:201]
	v_add_f64 v[153:154], v[192:193], v[153:154]
	v_add_f64 v[143:144], v[194:195], v[143:144]
	;; [unrolled: 1-line block ×4, first 2 shown]
	v_mul_f64 v[194:195], v[121:122], s[20:21]
	v_mul_f64 v[171:172], v[119:120], s[36:37]
	v_fma_f64 v[198:199], v[89:90], s[2:3], v[155:156]
	v_fma_f64 v[210:211], v[113:114], s[2:3], -v[157:158]
	v_fma_f64 v[155:156], v[89:90], s[2:3], -v[155:156]
	v_fma_f64 v[157:158], v[113:114], s[2:3], v[157:158]
	v_mul_f64 v[192:193], v[117:118], s[36:37]
	v_add_f64 v[161:162], v[208:209], v[161:162]
	v_fma_f64 v[214:215], v[91:92], s[22:23], v[179:180]
	v_fma_f64 v[216:217], v[125:126], s[22:23], -v[183:184]
	v_add_f64 v[159:160], v[206:207], v[159:160]
	v_fma_f64 v[175:176], v[131:132], s[26:27], v[175:176]
	v_add_f64 v[149:150], v[149:150], v[139:140]
	v_add_f64 v[86:87], v[50:51], v[86:87]
	;; [unrolled: 1-line block ×5, first 2 shown]
	v_mul_f64 v[169:170], v[111:112], s[28:29]
	v_add_f64 v[153:154], v[202:203], v[153:154]
	v_add_f64 v[143:144], v[204:205], v[143:144]
	;; [unrolled: 1-line block ×4, first 2 shown]
	v_fma_f64 v[163:164], v[129:130], s[26:27], -v[173:174]
	v_mul_f64 v[173:174], v[121:122], s[38:39]
	v_fma_f64 v[208:209], v[107:108], s[10:11], -v[194:195]
	v_mul_f64 v[165:166], v[119:120], s[8:9]
	v_fma_f64 v[206:207], v[103:104], s[24:25], v[171:172]
	v_fma_f64 v[194:195], v[107:108], s[10:11], v[194:195]
	v_fma_f64 v[171:172], v[103:104], s[24:25], -v[171:172]
	v_add_f64 v[200:201], v[50:51], v[200:201]
	s_mov_b32 s43, 0x3fedeba7
	s_mov_b32 s42, s20
	v_fma_f64 v[167:168], v[95:96], s[0:1], -v[167:168]
	v_add_f64 v[159:160], v[214:215], v[159:160]
	v_add_f64 v[161:162], v[216:217], v[161:162]
	v_fma_f64 v[190:191], v[127:128], s[0:1], v[190:191]
	v_mul_f64 v[214:215], v[115:116], s[42:43]
	v_add_f64 v[82:83], v[86:87], v[82:83]
	v_add_f64 v[151:152], v[175:176], v[151:152]
	v_mul_f64 v[175:176], v[111:112], s[42:43]
	v_add_f64 v[141:142], v[198:199], v[153:154]
	v_add_f64 v[139:140], v[210:211], v[143:144]
	v_add_f64 v[145:146], v[155:156], v[145:146]
	v_add_f64 v[143:144], v[157:158], v[147:148]
	v_fma_f64 v[147:148], v[109:110], s[2:3], v[196:197]
	v_mul_f64 v[153:154], v[117:118], s[8:9]
	v_fma_f64 v[155:156], v[107:108], s[2:3], -v[173:174]
	v_mul_f64 v[198:199], v[115:116], s[28:29]
	v_fma_f64 v[210:211], v[105:106], s[24:25], -v[192:193]
	v_add_f64 v[208:209], v[48:49], v[208:209]
	v_add_f64 v[149:150], v[163:164], v[149:150]
	;; [unrolled: 1-line block ×3, first 2 shown]
	v_fma_f64 v[192:193], v[105:106], s[24:25], v[192:193]
	v_add_f64 v[194:195], v[48:49], v[194:195]
	v_fma_f64 v[212:213], v[103:104], s[0:1], v[165:166]
	v_add_f64 v[80:81], v[84:85], v[80:81]
	v_mul_f64 v[157:158], v[99:100], s[38:39]
	v_fma_f64 v[163:164], v[129:130], s[22:23], v[169:170]
	v_mul_f64 v[222:223], v[135:136], s[38:39]
	v_fma_f64 v[86:87], v[129:130], s[22:23], -v[169:170]
	v_add_f64 v[169:170], v[171:172], v[200:201]
	v_fma_f64 v[179:180], v[91:92], s[22:23], -v[179:180]
	v_fma_f64 v[84:85], v[125:126], s[22:23], v[183:184]
	v_add_f64 v[151:152], v[190:191], v[151:152]
	v_mul_f64 v[190:191], v[99:100], s[28:29]
	v_add_f64 v[78:79], v[82:83], v[78:79]
	v_add_f64 v[147:148], v[50:51], v[147:148]
	v_fma_f64 v[216:217], v[105:106], s[0:1], -v[153:154]
	v_add_f64 v[155:156], v[48:49], v[155:156]
	v_fma_f64 v[224:225], v[131:132], s[22:23], -v[198:199]
	v_fma_f64 v[171:172], v[131:132], s[22:23], v[198:199]
	v_add_f64 v[208:209], v[210:211], v[208:209]
	v_add_f64 v[149:150], v[167:168], v[149:150]
	v_fma_f64 v[167:168], v[109:110], s[2:3], -v[196:197]
	v_fma_f64 v[196:197], v[131:132], s[10:11], -v[214:215]
	v_add_f64 v[183:184], v[192:193], v[194:195]
	v_fma_f64 v[192:193], v[129:130], s[10:11], v[175:176]
	v_mul_f64 v[194:195], v[135:136], s[28:29]
	v_add_f64 v[76:77], v[80:81], v[76:77]
	v_add_f64 v[163:164], v[163:164], v[206:207]
	v_mul_f64 v[206:207], v[133:134], s[40:41]
	v_fma_f64 v[210:211], v[127:128], s[2:3], -v[222:223]
	v_fma_f64 v[80:81], v[95:96], s[2:3], -v[157:158]
	v_add_f64 v[86:87], v[86:87], v[169:170]
	v_fma_f64 v[220:221], v[95:96], s[2:3], v[157:158]
	v_fma_f64 v[82:83], v[103:104], s[0:1], -v[165:166]
	v_fma_f64 v[165:166], v[127:128], s[2:3], v[222:223]
	v_mul_f64 v[169:170], v[97:98], s[34:35]
	v_add_f64 v[147:148], v[212:213], v[147:148]
	v_add_f64 v[74:75], v[78:79], v[74:75]
	;; [unrolled: 1-line block ×3, first 2 shown]
	v_mul_f64 v[218:219], v[97:98], s[40:41]
	v_fma_f64 v[78:79], v[129:130], s[10:11], -v[175:176]
	v_add_f64 v[208:209], v[224:225], v[208:209]
	v_add_f64 v[149:150], v[179:180], v[149:150]
	;; [unrolled: 1-line block ×3, first 2 shown]
	v_mul_f64 v[179:180], v[133:134], s[34:35]
	v_add_f64 v[167:168], v[171:172], v[183:184]
	v_fma_f64 v[171:172], v[95:96], s[22:23], v[190:191]
	v_fma_f64 v[183:184], v[127:128], s[22:23], -v[194:195]
	v_add_f64 v[72:73], v[76:77], v[72:73]
	v_mul_f64 v[198:199], v[93:94], s[30:31]
	v_mul_f64 v[212:213], v[123:124], s[30:31]
	v_add_f64 v[84:85], v[84:85], v[151:152]
	v_fma_f64 v[190:191], v[95:96], s[22:23], -v[190:191]
	v_add_f64 v[80:81], v[80:81], v[86:87]
	v_fma_f64 v[86:87], v[125:126], s[0:1], v[206:207]
	v_add_f64 v[163:164], v[220:221], v[163:164]
	v_mul_f64 v[177:178], v[93:94], s[20:21]
	v_mul_f64 v[181:182], v[123:124], s[20:21]
	v_add_f64 v[147:148], v[192:193], v[147:148]
	v_fma_f64 v[192:193], v[125:126], s[0:1], -v[206:207]
	v_add_f64 v[155:156], v[196:197], v[155:156]
	v_mul_f64 v[206:207], v[93:94], s[28:29]
	v_add_f64 v[62:63], v[74:75], v[62:63]
	v_add_f64 v[196:197], v[210:211], v[208:209]
	v_mul_f64 v[208:209], v[123:124], s[28:29]
	s_mov_b32 s29, 0xbfddbe06
	v_add_f64 v[82:83], v[82:83], v[157:158]
	v_add_f64 v[157:158], v[165:166], v[167:168]
	v_fma_f64 v[167:168], v[107:108], s[2:3], v[173:174]
	v_fma_f64 v[173:174], v[91:92], s[26:27], v[169:170]
	v_fma_f64 v[175:176], v[125:126], s[26:27], -v[179:180]
	v_add_f64 v[60:61], v[72:73], v[60:61]
	v_mul_f64 v[72:73], v[121:122], s[28:29]
	v_mul_f64 v[74:75], v[121:122], s[34:35]
	v_fma_f64 v[200:201], v[91:92], s[0:1], v[218:219]
	v_fma_f64 v[76:77], v[91:92], s[0:1], -v[218:219]
	v_fma_f64 v[121:122], v[105:106], s[0:1], v[153:154]
	v_fma_f64 v[151:152], v[89:90], s[26:27], v[198:199]
	v_mul_f64 v[165:166], v[93:94], s[18:19]
	v_mul_f64 v[93:94], v[93:94], s[8:9]
	v_add_f64 v[147:148], v[171:172], v[147:148]
	v_fma_f64 v[169:170], v[91:92], s[26:27], -v[169:170]
	v_add_f64 v[155:156], v[183:184], v[155:156]
	v_mul_f64 v[183:184], v[101:102], s[34:35]
	v_mul_f64 v[101:102], v[101:102], s[28:29]
	v_add_f64 v[192:193], v[192:193], v[196:197]
	v_add_f64 v[62:63], v[62:63], v[70:71]
	v_mul_f64 v[171:172], v[123:124], s[18:19]
	v_add_f64 v[78:79], v[78:79], v[82:83]
	v_fma_f64 v[82:83], v[89:90], s[26:27], -v[198:199]
	v_add_f64 v[153:154], v[48:49], v[167:168]
	v_mul_f64 v[198:199], v[117:118], s[20:21]
	v_mul_f64 v[117:118], v[117:118], s[34:35]
	v_add_f64 v[60:61], v[60:61], v[68:69]
	v_fma_f64 v[68:69], v[107:108], s[22:23], v[72:73]
	v_fma_f64 v[70:71], v[107:108], s[26:27], v[74:75]
	v_fma_f64 v[74:75], v[107:108], s[26:27], -v[74:75]
	v_fma_f64 v[72:73], v[107:108], s[22:23], -v[72:73]
	v_add_f64 v[163:164], v[200:201], v[163:164]
	v_fma_f64 v[200:201], v[113:114], s[26:27], -v[212:213]
	v_add_f64 v[76:77], v[76:77], v[80:81]
	v_fma_f64 v[80:81], v[113:114], s[26:27], v[212:213]
	v_add_f64 v[147:148], v[173:174], v[147:148]
	v_mul_f64 v[173:174], v[119:120], s[20:21]
	v_add_f64 v[155:156], v[175:176], v[155:156]
	v_fma_f64 v[196:197], v[109:110], s[26:27], -v[183:184]
	v_mul_f64 v[119:120], v[119:120], s[34:35]
	v_fma_f64 v[175:176], v[109:110], s[22:23], -v[101:102]
	v_fma_f64 v[183:184], v[109:110], s[26:27], v[183:184]
	v_fma_f64 v[101:102], v[109:110], s[22:23], v[101:102]
	v_mul_f64 v[109:110], v[111:112], s[8:9]
	v_mul_f64 v[111:112], v[111:112], s[38:39]
	v_add_f64 v[121:122], v[121:122], v[153:154]
	v_add_f64 v[62:63], v[62:63], v[66:67]
	;; [unrolled: 1-line block ×4, first 2 shown]
	v_fma_f64 v[190:191], v[127:128], s[22:23], v[194:195]
	v_fma_f64 v[194:195], v[131:132], s[10:11], v[214:215]
	v_mul_f64 v[107:108], v[115:116], s[8:9]
	v_mul_f64 v[115:116], v[115:116], s[38:39]
	v_fma_f64 v[214:215], v[105:106], s[26:27], v[117:118]
	v_add_f64 v[64:65], v[48:49], v[68:69]
	v_fma_f64 v[210:211], v[105:106], s[10:11], v[198:199]
	v_add_f64 v[66:67], v[48:49], v[70:71]
	v_add_f64 v[74:75], v[48:49], v[74:75]
	v_fma_f64 v[153:154], v[103:104], s[10:11], -v[173:174]
	v_fma_f64 v[70:71], v[103:104], s[10:11], v[173:174]
	v_add_f64 v[196:197], v[50:51], v[196:197]
	v_fma_f64 v[212:213], v[103:104], s[26:27], -v[119:120]
	v_add_f64 v[175:176], v[50:51], v[175:176]
	v_add_f64 v[173:174], v[50:51], v[183:184]
	v_fma_f64 v[183:184], v[105:106], s[10:11], -v[198:199]
	v_fma_f64 v[103:104], v[103:104], s[26:27], v[119:120]
	v_add_f64 v[50:51], v[50:51], v[101:102]
	v_fma_f64 v[101:102], v[105:106], s[26:27], -v[117:118]
	v_add_f64 v[48:49], v[48:49], v[72:73]
	v_mul_f64 v[68:69], v[99:100], s[36:37]
	v_fma_f64 v[105:106], v[129:130], s[0:1], -v[109:110]
	v_mul_f64 v[99:100], v[99:100], s[20:21]
	v_add_f64 v[58:59], v[62:63], v[58:59]
	v_add_f64 v[56:57], v[60:61], v[56:57]
	v_mul_f64 v[72:73], v[135:136], s[36:37]
	v_mul_f64 v[135:136], v[135:136], s[20:21]
	v_add_f64 v[60:61], v[214:215], v[64:65]
	v_fma_f64 v[119:120], v[131:132], s[0:1], v[107:108]
	v_add_f64 v[62:63], v[210:211], v[66:67]
	v_fma_f64 v[66:67], v[129:130], s[0:1], v[109:110]
	v_fma_f64 v[107:108], v[131:132], s[0:1], -v[107:108]
	v_fma_f64 v[109:110], v[129:130], s[2:3], v[111:112]
	v_add_f64 v[117:118], v[153:154], v[196:197]
	v_fma_f64 v[153:154], v[129:130], s[2:3], -v[111:112]
	v_add_f64 v[175:176], v[212:213], v[175:176]
	v_fma_f64 v[196:197], v[131:132], s[2:3], v[115:116]
	v_add_f64 v[70:71], v[70:71], v[173:174]
	v_add_f64 v[74:75], v[183:184], v[74:75]
	;; [unrolled: 1-line block ×3, first 2 shown]
	v_fma_f64 v[103:104], v[131:132], s[2:3], -v[115:116]
	v_add_f64 v[48:49], v[101:102], v[48:49]
	v_mul_f64 v[64:65], v[97:98], s[16:17]
	v_fma_f64 v[111:112], v[95:96], s[24:25], -v[68:69]
	v_mul_f64 v[97:98], v[97:98], s[18:19]
	v_fma_f64 v[129:130], v[95:96], s[10:11], -v[99:100]
	v_add_f64 v[54:55], v[58:59], v[54:55]
	v_add_f64 v[52:53], v[56:57], v[52:53]
	v_mul_f64 v[101:102], v[133:134], s[16:17]
	v_fma_f64 v[115:116], v[127:128], s[24:25], v[72:73]
	v_add_f64 v[86:87], v[86:87], v[157:158]
	v_add_f64 v[58:59], v[119:120], v[62:63]
	v_fma_f64 v[62:63], v[95:96], s[24:25], v[68:69]
	v_fma_f64 v[68:69], v[127:128], s[24:25], -v[72:73]
	v_fma_f64 v[72:73], v[95:96], s[10:11], v[99:100]
	v_add_f64 v[105:106], v[105:106], v[117:118]
	v_mul_f64 v[117:118], v[133:134], s[18:19]
	v_add_f64 v[131:132], v[153:154], v[175:176]
	v_fma_f64 v[133:134], v[127:128], s[10:11], v[135:136]
	v_add_f64 v[56:57], v[196:197], v[60:61]
	v_add_f64 v[60:61], v[194:195], v[121:122]
	;; [unrolled: 1-line block ×5, first 2 shown]
	v_fma_f64 v[74:75], v[127:128], s[10:11], -v[135:136]
	v_add_f64 v[48:49], v[103:104], v[48:49]
	v_fma_f64 v[109:110], v[91:92], s[24:25], -v[97:98]
	v_fma_f64 v[99:100], v[91:92], s[2:3], -v[64:65]
	v_add_f64 v[10:11], v[54:55], v[10:11]
	v_add_f64 v[8:9], v[52:53], v[8:9]
	v_mul_f64 v[107:108], v[123:124], s[8:9]
	v_fma_f64 v[95:96], v[125:126], s[26:27], v[179:180]
	v_fma_f64 v[202:203], v[89:90], s[10:11], v[177:178]
	v_add_f64 v[54:55], v[115:116], v[58:59]
	v_fma_f64 v[58:59], v[91:92], s[2:3], v[64:65]
	v_fma_f64 v[204:205], v[113:114], s[10:11], -v[181:182]
	v_fma_f64 v[177:178], v[89:90], s[10:11], -v[177:178]
	v_add_f64 v[103:104], v[111:112], v[105:106]
	v_fma_f64 v[119:120], v[125:126], s[24:25], v[117:118]
	v_add_f64 v[111:112], v[129:130], v[131:132]
	v_fma_f64 v[105:106], v[125:126], s[2:3], v[101:102]
	v_add_f64 v[52:53], v[133:134], v[56:57]
	v_add_f64 v[56:57], v[190:191], v[60:61]
	;; [unrolled: 1-line block ×3, first 2 shown]
	v_fma_f64 v[62:63], v[125:126], s[2:3], -v[101:102]
	v_add_f64 v[64:65], v[68:69], v[70:71]
	v_fma_f64 v[66:67], v[91:92], s[24:25], v[97:98]
	v_add_f64 v[50:51], v[72:73], v[50:51]
	v_fma_f64 v[68:69], v[125:126], s[24:25], -v[117:118]
	v_add_f64 v[48:49], v[74:75], v[48:49]
	v_add_f64 v[72:73], v[169:170], v[78:79]
	v_fma_f64 v[78:79], v[89:90], s[22:23], -v[206:207]
	v_fma_f64 v[97:98], v[113:114], s[22:23], v[208:209]
	v_fma_f64 v[70:71], v[89:90], s[24:25], -v[165:166]
	v_fma_f64 v[74:75], v[113:114], s[24:25], v[171:172]
	v_fma_f64 v[181:182], v[113:114], s[10:11], v[181:182]
	;; [unrolled: 1-line block ×3, first 2 shown]
	v_fma_f64 v[167:168], v[113:114], s[24:25], -v[171:172]
	v_fma_f64 v[117:118], v[113:114], s[22:23], -v[208:209]
	v_add_f64 v[91:92], v[99:100], v[103:104]
	v_fma_f64 v[99:100], v[89:90], s[0:1], -v[93:94]
	v_add_f64 v[101:102], v[109:110], v[111:112]
	v_add_f64 v[109:110], v[10:11], v[6:7]
	;; [unrolled: 1-line block ×3, first 2 shown]
	v_fma_f64 v[103:104], v[113:114], s[0:1], v[107:108]
	v_add_f64 v[52:53], v[119:120], v[52:53]
	v_add_f64 v[105:106], v[105:106], v[54:55]
	;; [unrolled: 1-line block ×3, first 2 shown]
	v_fma_f64 v[95:96], v[89:90], s[22:23], v[206:207]
	v_add_f64 v[115:116], v[58:59], v[60:61]
	v_add_f64 v[119:120], v[62:63], v[64:65]
	v_fma_f64 v[89:90], v[89:90], s[0:1], v[93:94]
	v_add_f64 v[93:94], v[66:67], v[50:51]
	v_fma_f64 v[107:108], v[113:114], s[0:1], -v[107:108]
	v_add_f64 v[113:114], v[68:69], v[48:49]
	v_add_f64 v[58:59], v[70:71], v[72:73]
	;; [unrolled: 1-line block ×23, first 2 shown]
	v_and_b32_e32 v80, 0xffff, v189
	v_lshl_add_u32 v80, v80, 4, v188
	ds_write_b128 v80, v[0:3]
	ds_write_b128 v80, v[64:67] offset:16
	ds_write_b128 v80, v[60:63] offset:32
	;; [unrolled: 1-line block ×12, first 2 shown]
.LBB0_13:
	s_or_b32 exec_lo, exec_lo, s33
	s_waitcnt lgkmcnt(0)
	s_barrier
	buffer_gl0_inv
	ds_read_b128 v[0:3], v138 offset:624
	ds_read_b128 v[4:7], v138 offset:1040
	;; [unrolled: 1-line block ×9, first 2 shown]
	ds_read_b128 v[72:75], v138
	s_mov_b32 s8, 0x134454ff
	s_mov_b32 s9, 0xbfee6f0e
	;; [unrolled: 1-line block ×10, first 2 shown]
	s_waitcnt lgkmcnt(9)
	v_mul_f64 v[76:77], v[18:19], v[0:1]
	s_waitcnt lgkmcnt(8)
	v_mul_f64 v[78:79], v[26:27], v[4:5]
	;; [unrolled: 2-line block ×5, first 2 shown]
	v_mul_f64 v[18:19], v[18:19], v[2:3]
	v_mul_f64 v[26:27], v[26:27], v[6:7]
	;; [unrolled: 1-line block ×4, first 2 shown]
	s_waitcnt lgkmcnt(4)
	v_mul_f64 v[86:87], v[46:47], v[58:59]
	v_mul_f64 v[46:47], v[46:47], v[56:57]
	s_waitcnt lgkmcnt(3)
	v_mul_f64 v[89:90], v[42:43], v[62:63]
	v_mul_f64 v[42:43], v[42:43], v[60:61]
	s_waitcnt lgkmcnt(2)
	v_mul_f64 v[91:92], v[38:39], v[66:67]
	s_waitcnt lgkmcnt(1)
	v_mul_f64 v[93:94], v[34:35], v[68:69]
	v_mul_f64 v[38:39], v[38:39], v[64:65]
	;; [unrolled: 1-line block ×4, first 2 shown]
	s_mov_b32 s18, 0x9b97f4a8
	s_mov_b32 s19, 0x3fe9e377
	;; [unrolled: 1-line block ×4, first 2 shown]
	v_fma_f64 v[2:3], v[16:17], v[2:3], -v[76:77]
	v_fma_f64 v[6:7], v[24:25], v[6:7], -v[78:79]
	;; [unrolled: 1-line block ×4, first 2 shown]
	s_mov_b32 s23, 0xbfe9e377
	v_fma_f64 v[0:1], v[16:17], v[0:1], v[18:19]
	v_fma_f64 v[4:5], v[24:25], v[4:5], v[26:27]
	;; [unrolled: 1-line block ×4, first 2 shown]
	v_fma_f64 v[22:23], v[12:13], v[54:55], -v[84:85]
	v_fma_f64 v[56:57], v[44:45], v[56:57], v[86:87]
	v_fma_f64 v[44:45], v[44:45], v[58:59], -v[46:47]
	v_fma_f64 v[16:17], v[40:41], v[60:61], v[89:90]
	;; [unrolled: 2-line block ×3, first 2 shown]
	v_fma_f64 v[42:43], v[32:33], v[70:71], -v[93:94]
	v_fma_f64 v[36:37], v[36:37], v[66:67], -v[38:39]
	v_fma_f64 v[24:25], v[32:33], v[68:69], v[34:35]
	v_fma_f64 v[12:13], v[12:13], v[52:53], v[14:15]
	s_mov_b32 s22, s18
	v_add_f64 v[84:85], v[2:3], -v[6:7]
	v_add_f64 v[26:27], v[6:7], v[10:11]
	v_add_f64 v[28:29], v[2:3], v[50:51]
	v_add_f64 v[82:83], v[2:3], -v[50:51]
	v_add_f64 v[86:87], v[50:51], -v[10:11]
	;; [unrolled: 1-line block ×3, first 2 shown]
	v_add_f64 v[48:49], v[4:5], v[8:9]
	v_add_f64 v[52:53], v[0:1], v[20:21]
	v_add_f64 v[54:55], v[0:1], -v[20:21]
	v_add_f64 v[58:59], v[4:5], -v[8:9]
	s_waitcnt lgkmcnt(0)
	v_add_f64 v[14:15], v[72:73], v[56:57]
	v_add_f64 v[38:39], v[56:57], -v[16:17]
	v_add_f64 v[89:90], v[6:7], -v[2:3]
	v_add_f64 v[30:31], v[16:17], v[40:41]
	v_add_f64 v[80:81], v[44:45], v[42:43]
	;; [unrolled: 1-line block ×3, first 2 shown]
	v_add_f64 v[46:47], v[24:25], -v[40:41]
	v_add_f64 v[60:61], v[56:57], v[24:25]
	v_add_f64 v[91:92], v[10:11], -v[50:51]
	v_add_f64 v[66:67], v[74:75], v[44:45]
	v_add_f64 v[2:3], v[22:23], v[2:3]
	v_add_f64 v[32:33], v[44:45], -v[42:43]
	v_add_f64 v[34:35], v[18:19], -v[36:37]
	v_fma_f64 v[26:27], v[26:27], -0.5, v[22:23]
	v_fma_f64 v[28:29], v[28:29], -0.5, v[22:23]
	v_add_f64 v[62:63], v[16:17], -v[56:57]
	v_add_f64 v[64:65], v[40:41], -v[24:25]
	;; [unrolled: 1-line block ×3, first 2 shown]
	v_fma_f64 v[48:49], v[48:49], -0.5, v[12:13]
	v_fma_f64 v[52:53], v[52:53], -0.5, v[12:13]
	v_add_f64 v[12:13], v[12:13], v[0:1]
	v_add_f64 v[70:71], v[16:17], -v[40:41]
	v_add_f64 v[101:102], v[0:1], -v[4:5]
	;; [unrolled: 1-line block ×3, first 2 shown]
	v_add_f64 v[14:15], v[14:15], v[16:17]
	v_fma_f64 v[22:23], v[30:31], -0.5, v[72:73]
	v_add_f64 v[0:1], v[4:5], -v[0:1]
	v_add_f64 v[105:106], v[8:9], -v[20:21]
	v_add_f64 v[30:31], v[38:39], v[46:47]
	v_fma_f64 v[16:17], v[60:61], -0.5, v[72:73]
	v_fma_f64 v[38:39], v[68:69], -0.5, v[74:75]
	v_fma_f64 v[46:47], v[80:81], -0.5, v[74:75]
	v_add_f64 v[60:61], v[84:85], v[86:87]
	v_add_f64 v[68:69], v[89:90], v[91:92]
	v_add_f64 v[76:77], v[44:45], -v[18:19]
	v_fma_f64 v[97:98], v[54:55], s[2:3], v[26:27]
	v_fma_f64 v[99:100], v[58:59], s[8:9], v[28:29]
	v_fma_f64 v[28:29], v[58:59], s[2:3], v[28:29]
	v_fma_f64 v[26:27], v[54:55], s[8:9], v[26:27]
	v_add_f64 v[44:45], v[18:19], -v[44:45]
	v_fma_f64 v[72:73], v[82:83], s[8:9], v[48:49]
	v_fma_f64 v[74:75], v[93:94], s[2:3], v[52:53]
	;; [unrolled: 1-line block ×4, first 2 shown]
	v_add_f64 v[18:19], v[66:67], v[18:19]
	v_add_f64 v[4:5], v[12:13], v[4:5]
	v_add_f64 v[2:3], v[2:3], v[6:7]
	v_add_f64 v[78:79], v[42:43], -v[36:37]
	v_add_f64 v[12:13], v[101:102], v[103:104]
	v_fma_f64 v[6:7], v[32:33], s[8:9], v[22:23]
	v_fma_f64 v[22:23], v[32:33], s[2:3], v[22:23]
	v_add_f64 v[95:96], v[36:37], -v[42:43]
	v_add_f64 v[0:1], v[0:1], v[105:106]
	v_add_f64 v[14:15], v[14:15], v[40:41]
	v_fma_f64 v[80:81], v[58:59], s[16:17], v[97:98]
	v_fma_f64 v[84:85], v[54:55], s[16:17], v[99:100]
	;; [unrolled: 1-line block ×4, first 2 shown]
	v_add_f64 v[54:55], v[62:63], v[64:65]
	v_fma_f64 v[58:59], v[34:35], s[2:3], v[16:17]
	v_fma_f64 v[16:17], v[34:35], s[8:9], v[16:17]
	;; [unrolled: 1-line block ×10, first 2 shown]
	v_add_f64 v[18:19], v[18:19], v[36:37]
	v_add_f64 v[4:5], v[4:5], v[8:9]
	;; [unrolled: 1-line block ×3, first 2 shown]
	v_fma_f64 v[6:7], v[34:35], s[10:11], v[6:7]
	v_fma_f64 v[8:9], v[34:35], s[16:17], v[22:23]
	v_add_f64 v[44:45], v[44:45], v[95:96]
	v_add_f64 v[14:15], v[14:15], v[24:25]
	v_fma_f64 v[74:75], v[60:61], s[0:1], v[80:81]
	v_fma_f64 v[80:81], v[68:69], s[0:1], v[84:85]
	;; [unrolled: 1-line block ×4, first 2 shown]
	v_add_f64 v[60:61], v[76:77], v[78:79]
	v_fma_f64 v[10:11], v[32:33], s[10:11], v[58:59]
	v_fma_f64 v[16:17], v[32:33], s[16:17], v[16:17]
	v_fma_f64 v[22:23], v[70:71], s[16:17], v[62:63]
	v_fma_f64 v[32:33], v[70:71], s[10:11], v[38:39]
	v_fma_f64 v[34:35], v[56:57], s[16:17], v[64:65]
	v_fma_f64 v[36:37], v[56:57], s[10:11], v[46:47]
	v_fma_f64 v[38:39], v[12:13], s[0:1], v[66:67]
	v_fma_f64 v[40:41], v[0:1], s[0:1], v[72:73]
	v_fma_f64 v[12:13], v[12:13], s[0:1], v[48:49]
	v_fma_f64 v[0:1], v[0:1], s[0:1], v[52:53]
	v_add_f64 v[18:19], v[18:19], v[42:43]
	v_add_f64 v[4:5], v[4:5], v[20:21]
	;; [unrolled: 1-line block ×3, first 2 shown]
	v_fma_f64 v[24:25], v[30:31], s[0:1], v[6:7]
	v_fma_f64 v[30:31], v[30:31], s[0:1], v[8:9]
	v_mul_f64 v[46:47], v[74:75], s[10:11]
	v_mul_f64 v[58:59], v[74:75], s[18:19]
	;; [unrolled: 1-line block ×8, first 2 shown]
	v_fma_f64 v[42:43], v[54:55], s[0:1], v[10:11]
	v_fma_f64 v[50:51], v[54:55], s[0:1], v[16:17]
	;; [unrolled: 1-line block ×6, first 2 shown]
	v_add_f64 v[2:3], v[18:19], v[20:21]
	v_add_f64 v[6:7], v[18:19], -v[20:21]
	v_fma_f64 v[32:33], v[38:39], s[18:19], v[46:47]
	v_fma_f64 v[38:39], v[38:39], s[16:17], v[58:59]
	;; [unrolled: 1-line block ×8, first 2 shown]
	v_add_f64 v[0:1], v[14:15], v[4:5]
	v_add_f64 v[4:5], v[14:15], -v[4:5]
	v_add_f64 v[8:9], v[24:25], v[32:33]
	v_add_f64 v[10:11], v[54:55], v[38:39]
	;; [unrolled: 1-line block ×8, first 2 shown]
	v_add_f64 v[24:25], v[24:25], -v[32:33]
	v_add_f64 v[26:27], v[54:55], -v[38:39]
	;; [unrolled: 1-line block ×8, first 2 shown]
	ds_write_b128 v137, v[0:3]
	ds_write_b128 v137, v[4:7] offset:1040
	ds_write_b128 v137, v[8:11] offset:208
	;; [unrolled: 1-line block ×9, first 2 shown]
	s_waitcnt lgkmcnt(0)
	s_barrier
	buffer_gl0_inv
	s_and_b32 exec_lo, exec_lo, vcc_lo
	s_cbranch_execz .LBB0_15
; %bb.14:
	s_clause 0xc
	global_load_dwordx4 v[0:3], v187, s[14:15]
	global_load_dwordx4 v[4:7], v187, s[14:15] offset:160
	global_load_dwordx4 v[8:11], v187, s[14:15] offset:320
	;; [unrolled: 1-line block ×12, first 2 shown]
	v_mad_u64_u32 v[52:53], null, s6, v88, 0
	v_mad_u64_u32 v[54:55], null, s4, v186, 0
	s_mul_i32 s0, s5, 0xa0
	s_mul_hi_u32 s1, s4, 0xa0
	s_mul_i32 s2, s4, 0xa0
	s_add_i32 s3, s1, s0
	v_mad_u64_u32 v[120:121], null, s4, v185, 0
	v_mad_u64_u32 v[56:57], null, s7, v88, v[53:54]
	s_mov_b32 s0, 0x1f81f820
	s_mov_b32 s1, 0x3f7f81f8
	v_mov_b32_e32 v68, v121
	v_mad_u64_u32 v[57:58], null, s5, v186, v[55:56]
	v_mov_b32_e32 v53, v56
	v_mad_u64_u32 v[92:93], null, s5, v185, v[68:69]
	v_lshlrev_b64 v[52:53], 4, v[52:53]
	v_mov_b32_e32 v55, v57
	v_mov_b32_e32 v121, v92
	v_lshlrev_b64 v[54:55], 4, v[54:55]
	v_add_co_u32 v152, vcc_lo, s12, v52
	v_add_co_ci_u32_e32 v153, vcc_lo, s13, v53, vcc_lo
	v_lshlrev_b64 v[120:121], 4, v[120:121]
	v_add_co_u32 v104, vcc_lo, v152, v54
	v_add_co_ci_u32_e32 v105, vcc_lo, v153, v55, vcc_lo
	ds_read_b128 v[52:55], v137
	ds_read_b128 v[56:59], v137 offset:160
	v_add_co_u32 v106, vcc_lo, v104, s2
	v_add_co_ci_u32_e32 v107, vcc_lo, s3, v105, vcc_lo
	ds_read_b128 v[60:63], v137 offset:320
	ds_read_b128 v[64:67], v137 offset:480
	v_add_co_u32 v108, vcc_lo, v106, s2
	v_add_co_ci_u32_e32 v109, vcc_lo, s3, v107, vcc_lo
	ds_read_b128 v[68:71], v137 offset:640
	ds_read_b128 v[72:75], v137 offset:800
	v_add_co_u32 v110, vcc_lo, v108, s2
	v_add_co_ci_u32_e32 v111, vcc_lo, s3, v109, vcc_lo
	v_add_co_u32 v112, vcc_lo, v110, s2
	v_add_co_ci_u32_e32 v113, vcc_lo, s3, v111, vcc_lo
	;; [unrolled: 2-line block ×5, first 2 shown]
	v_mad_u64_u32 v[122:123], null, 0x140, s4, v[118:119]
	v_mov_b32_e32 v76, v123
	v_mad_u64_u32 v[123:124], null, 0x140, s5, v[76:77]
	ds_read_b128 v[76:79], v137 offset:960
	ds_read_b128 v[80:83], v137 offset:1120
	;; [unrolled: 1-line block ×7, first 2 shown]
	v_add_co_u32 v124, vcc_lo, v122, s2
	v_add_co_ci_u32_e32 v125, vcc_lo, s3, v123, vcc_lo
	s_waitcnt vmcnt(12) lgkmcnt(12)
	v_mul_f64 v[126:127], v[54:55], v[2:3]
	v_mul_f64 v[2:3], v[52:53], v[2:3]
	s_waitcnt vmcnt(11) lgkmcnt(11)
	v_mul_f64 v[128:129], v[58:59], v[6:7]
	v_mul_f64 v[6:7], v[56:57], v[6:7]
	;; [unrolled: 3-line block ×13, first 2 shown]
	v_fma_f64 v[52:53], v[52:53], v[0:1], v[126:127]
	v_fma_f64 v[2:3], v[0:1], v[54:55], -v[2:3]
	v_fma_f64 v[54:55], v[56:57], v[4:5], v[128:129]
	v_fma_f64 v[6:7], v[4:5], v[58:59], -v[6:7]
	;; [unrolled: 2-line block ×13, first 2 shown]
	v_mul_f64 v[0:1], v[52:53], s[0:1]
	v_mul_f64 v[2:3], v[2:3], s[0:1]
	v_mul_f64 v[4:5], v[54:55], s[0:1]
	v_mul_f64 v[6:7], v[6:7], s[0:1]
	v_mul_f64 v[8:9], v[56:57], s[0:1]
	v_mul_f64 v[10:11], v[10:11], s[0:1]
	v_mul_f64 v[12:13], v[58:59], s[0:1]
	v_mul_f64 v[14:15], v[14:15], s[0:1]
	v_mul_f64 v[16:17], v[60:61], s[0:1]
	v_mul_f64 v[18:19], v[18:19], s[0:1]
	v_mul_f64 v[20:21], v[62:63], s[0:1]
	v_mul_f64 v[22:23], v[22:23], s[0:1]
	v_mul_f64 v[24:25], v[64:65], s[0:1]
	v_mul_f64 v[26:27], v[26:27], s[0:1]
	v_mul_f64 v[28:29], v[66:67], s[0:1]
	v_mul_f64 v[30:31], v[30:31], s[0:1]
	v_mul_f64 v[32:33], v[68:69], s[0:1]
	v_mul_f64 v[34:35], v[34:35], s[0:1]
	v_mul_f64 v[36:37], v[70:71], s[0:1]
	v_mul_f64 v[38:39], v[38:39], s[0:1]
	v_mul_f64 v[40:41], v[72:73], s[0:1]
	v_mul_f64 v[42:43], v[42:43], s[0:1]
	v_mul_f64 v[44:45], v[74:75], s[0:1]
	v_mul_f64 v[46:47], v[46:47], s[0:1]
	v_mul_f64 v[48:49], v[76:77], s[0:1]
	v_mul_f64 v[50:51], v[50:51], s[0:1]
	v_add_co_u32 v52, vcc_lo, v124, s2
	v_add_co_ci_u32_e32 v53, vcc_lo, s3, v125, vcc_lo
	v_add_co_u32 v54, vcc_lo, v152, v120
	v_add_co_ci_u32_e32 v55, vcc_lo, v153, v121, vcc_lo
	;; [unrolled: 2-line block ×3, first 2 shown]
	global_store_dwordx4 v[104:105], v[0:3], off
	global_store_dwordx4 v[106:107], v[4:7], off
	;; [unrolled: 1-line block ×13, first 2 shown]
.LBB0_15:
	s_endpgm
	.section	.rodata,"a",@progbits
	.p2align	6, 0x0
	.amdhsa_kernel bluestein_single_back_len130_dim1_dp_op_CI_CI
		.amdhsa_group_segment_fixed_size 8320
		.amdhsa_private_segment_fixed_size 0
		.amdhsa_kernarg_size 104
		.amdhsa_user_sgpr_count 6
		.amdhsa_user_sgpr_private_segment_buffer 1
		.amdhsa_user_sgpr_dispatch_ptr 0
		.amdhsa_user_sgpr_queue_ptr 0
		.amdhsa_user_sgpr_kernarg_segment_ptr 1
		.amdhsa_user_sgpr_dispatch_id 0
		.amdhsa_user_sgpr_flat_scratch_init 0
		.amdhsa_user_sgpr_private_segment_size 0
		.amdhsa_wavefront_size32 1
		.amdhsa_uses_dynamic_stack 0
		.amdhsa_system_sgpr_private_segment_wavefront_offset 0
		.amdhsa_system_sgpr_workgroup_id_x 1
		.amdhsa_system_sgpr_workgroup_id_y 0
		.amdhsa_system_sgpr_workgroup_id_z 0
		.amdhsa_system_sgpr_workgroup_info 0
		.amdhsa_system_vgpr_workitem_id 0
		.amdhsa_next_free_vgpr 228
		.amdhsa_next_free_sgpr 46
		.amdhsa_reserve_vcc 1
		.amdhsa_reserve_flat_scratch 0
		.amdhsa_float_round_mode_32 0
		.amdhsa_float_round_mode_16_64 0
		.amdhsa_float_denorm_mode_32 3
		.amdhsa_float_denorm_mode_16_64 3
		.amdhsa_dx10_clamp 1
		.amdhsa_ieee_mode 1
		.amdhsa_fp16_overflow 0
		.amdhsa_workgroup_processor_mode 1
		.amdhsa_memory_ordered 1
		.amdhsa_forward_progress 0
		.amdhsa_shared_vgpr_count 0
		.amdhsa_exception_fp_ieee_invalid_op 0
		.amdhsa_exception_fp_denorm_src 0
		.amdhsa_exception_fp_ieee_div_zero 0
		.amdhsa_exception_fp_ieee_overflow 0
		.amdhsa_exception_fp_ieee_underflow 0
		.amdhsa_exception_fp_ieee_inexact 0
		.amdhsa_exception_int_div_zero 0
	.end_amdhsa_kernel
	.text
.Lfunc_end0:
	.size	bluestein_single_back_len130_dim1_dp_op_CI_CI, .Lfunc_end0-bluestein_single_back_len130_dim1_dp_op_CI_CI
                                        ; -- End function
	.section	.AMDGPU.csdata,"",@progbits
; Kernel info:
; codeLenInByte = 15132
; NumSgprs: 48
; NumVgprs: 228
; ScratchSize: 0
; MemoryBound: 0
; FloatMode: 240
; IeeeMode: 1
; LDSByteSize: 8320 bytes/workgroup (compile time only)
; SGPRBlocks: 5
; VGPRBlocks: 28
; NumSGPRsForWavesPerEU: 48
; NumVGPRsForWavesPerEU: 228
; Occupancy: 4
; WaveLimiterHint : 1
; COMPUTE_PGM_RSRC2:SCRATCH_EN: 0
; COMPUTE_PGM_RSRC2:USER_SGPR: 6
; COMPUTE_PGM_RSRC2:TRAP_HANDLER: 0
; COMPUTE_PGM_RSRC2:TGID_X_EN: 1
; COMPUTE_PGM_RSRC2:TGID_Y_EN: 0
; COMPUTE_PGM_RSRC2:TGID_Z_EN: 0
; COMPUTE_PGM_RSRC2:TIDIG_COMP_CNT: 0
	.text
	.p2alignl 6, 3214868480
	.fill 48, 4, 3214868480
	.type	__hip_cuid_326983cfc873b7bb,@object ; @__hip_cuid_326983cfc873b7bb
	.section	.bss,"aw",@nobits
	.globl	__hip_cuid_326983cfc873b7bb
__hip_cuid_326983cfc873b7bb:
	.byte	0                               ; 0x0
	.size	__hip_cuid_326983cfc873b7bb, 1

	.ident	"AMD clang version 19.0.0git (https://github.com/RadeonOpenCompute/llvm-project roc-6.4.0 25133 c7fe45cf4b819c5991fe208aaa96edf142730f1d)"
	.section	".note.GNU-stack","",@progbits
	.addrsig
	.addrsig_sym __hip_cuid_326983cfc873b7bb
	.amdgpu_metadata
---
amdhsa.kernels:
  - .args:
      - .actual_access:  read_only
        .address_space:  global
        .offset:         0
        .size:           8
        .value_kind:     global_buffer
      - .actual_access:  read_only
        .address_space:  global
        .offset:         8
        .size:           8
        .value_kind:     global_buffer
      - .actual_access:  read_only
        .address_space:  global
        .offset:         16
        .size:           8
        .value_kind:     global_buffer
      - .actual_access:  read_only
        .address_space:  global
        .offset:         24
        .size:           8
        .value_kind:     global_buffer
      - .actual_access:  read_only
        .address_space:  global
        .offset:         32
        .size:           8
        .value_kind:     global_buffer
      - .offset:         40
        .size:           8
        .value_kind:     by_value
      - .address_space:  global
        .offset:         48
        .size:           8
        .value_kind:     global_buffer
      - .address_space:  global
        .offset:         56
        .size:           8
        .value_kind:     global_buffer
      - .address_space:  global
        .offset:         64
        .size:           8
        .value_kind:     global_buffer
      - .address_space:  global
        .offset:         72
        .size:           8
        .value_kind:     global_buffer
      - .offset:         80
        .size:           4
        .value_kind:     by_value
      - .address_space:  global
        .offset:         88
        .size:           8
        .value_kind:     global_buffer
      - .address_space:  global
        .offset:         96
        .size:           8
        .value_kind:     global_buffer
    .group_segment_fixed_size: 8320
    .kernarg_segment_align: 8
    .kernarg_segment_size: 104
    .language:       OpenCL C
    .language_version:
      - 2
      - 0
    .max_flat_workgroup_size: 52
    .name:           bluestein_single_back_len130_dim1_dp_op_CI_CI
    .private_segment_fixed_size: 0
    .sgpr_count:     48
    .sgpr_spill_count: 0
    .symbol:         bluestein_single_back_len130_dim1_dp_op_CI_CI.kd
    .uniform_work_group_size: 1
    .uses_dynamic_stack: false
    .vgpr_count:     228
    .vgpr_spill_count: 0
    .wavefront_size: 32
    .workgroup_processor_mode: 1
amdhsa.target:   amdgcn-amd-amdhsa--gfx1030
amdhsa.version:
  - 1
  - 2
...

	.end_amdgpu_metadata
